;; amdgpu-corpus repo=ROCm/rocFFT kind=compiled arch=gfx906 opt=O3
	.text
	.amdgcn_target "amdgcn-amd-amdhsa--gfx906"
	.amdhsa_code_object_version 6
	.protected	fft_rtc_fwd_len1764_factors_2_2_3_3_7_7_wgs_126_tpt_126_halfLds_half_op_CI_CI_sbrr_dirReg ; -- Begin function fft_rtc_fwd_len1764_factors_2_2_3_3_7_7_wgs_126_tpt_126_halfLds_half_op_CI_CI_sbrr_dirReg
	.globl	fft_rtc_fwd_len1764_factors_2_2_3_3_7_7_wgs_126_tpt_126_halfLds_half_op_CI_CI_sbrr_dirReg
	.p2align	8
	.type	fft_rtc_fwd_len1764_factors_2_2_3_3_7_7_wgs_126_tpt_126_halfLds_half_op_CI_CI_sbrr_dirReg,@function
fft_rtc_fwd_len1764_factors_2_2_3_3_7_7_wgs_126_tpt_126_halfLds_half_op_CI_CI_sbrr_dirReg: ; @fft_rtc_fwd_len1764_factors_2_2_3_3_7_7_wgs_126_tpt_126_halfLds_half_op_CI_CI_sbrr_dirReg
; %bb.0:
	s_load_dwordx4 s[16:19], s[4:5], 0x18
	s_load_dwordx4 s[12:15], s[4:5], 0x0
	;; [unrolled: 1-line block ×3, first 2 shown]
	v_mul_u32_u24_e32 v1, 0x209, v0
	v_mov_b32_e32 v7, 0
	s_waitcnt lgkmcnt(0)
	s_load_dwordx2 s[20:21], s[16:17], 0x0
	s_load_dwordx2 s[2:3], s[18:19], 0x0
	v_cmp_lt_u64_e64 s[0:1], s[14:15], 2
	v_mov_b32_e32 v5, 0
	v_add_u32_sdwa v9, s6, v1 dst_sel:DWORD dst_unused:UNUSED_PAD src0_sel:DWORD src1_sel:WORD_1
	v_mov_b32_e32 v10, v7
	s_and_b64 vcc, exec, s[0:1]
	v_mov_b32_e32 v6, 0
	s_cbranch_vccnz .LBB0_8
; %bb.1:
	s_load_dwordx2 s[0:1], s[4:5], 0x10
	s_add_u32 s6, s18, 8
	s_addc_u32 s7, s19, 0
	s_add_u32 s22, s16, 8
	s_addc_u32 s23, s17, 0
	v_mov_b32_e32 v5, 0
	s_waitcnt lgkmcnt(0)
	s_add_u32 s24, s0, 8
	v_mov_b32_e32 v6, 0
	v_mov_b32_e32 v1, v5
	s_addc_u32 s25, s1, 0
	s_mov_b64 s[26:27], 1
	v_mov_b32_e32 v2, v6
.LBB0_2:                                ; =>This Inner Loop Header: Depth=1
	s_load_dwordx2 s[28:29], s[24:25], 0x0
                                        ; implicit-def: $vgpr3_vgpr4
	s_waitcnt lgkmcnt(0)
	v_or_b32_e32 v8, s29, v10
	v_cmp_ne_u64_e32 vcc, 0, v[7:8]
	s_and_saveexec_b64 s[0:1], vcc
	s_xor_b64 s[30:31], exec, s[0:1]
	s_cbranch_execz .LBB0_4
; %bb.3:                                ;   in Loop: Header=BB0_2 Depth=1
	v_cvt_f32_u32_e32 v3, s28
	v_cvt_f32_u32_e32 v4, s29
	s_sub_u32 s0, 0, s28
	s_subb_u32 s1, 0, s29
	v_mac_f32_e32 v3, 0x4f800000, v4
	v_rcp_f32_e32 v3, v3
	v_mul_f32_e32 v3, 0x5f7ffffc, v3
	v_mul_f32_e32 v4, 0x2f800000, v3
	v_trunc_f32_e32 v4, v4
	v_mac_f32_e32 v3, 0xcf800000, v4
	v_cvt_u32_f32_e32 v4, v4
	v_cvt_u32_f32_e32 v3, v3
	v_mul_lo_u32 v8, s0, v4
	v_mul_hi_u32 v11, s0, v3
	v_mul_lo_u32 v13, s1, v3
	v_mul_lo_u32 v12, s0, v3
	v_add_u32_e32 v8, v11, v8
	v_add_u32_e32 v8, v8, v13
	v_mul_hi_u32 v11, v3, v12
	v_mul_lo_u32 v13, v3, v8
	v_mul_hi_u32 v15, v3, v8
	v_mul_hi_u32 v14, v4, v12
	v_mul_lo_u32 v12, v4, v12
	v_mul_hi_u32 v16, v4, v8
	v_add_co_u32_e32 v11, vcc, v11, v13
	v_addc_co_u32_e32 v13, vcc, 0, v15, vcc
	v_mul_lo_u32 v8, v4, v8
	v_add_co_u32_e32 v11, vcc, v11, v12
	v_addc_co_u32_e32 v11, vcc, v13, v14, vcc
	v_addc_co_u32_e32 v12, vcc, 0, v16, vcc
	v_add_co_u32_e32 v8, vcc, v11, v8
	v_addc_co_u32_e32 v11, vcc, 0, v12, vcc
	v_add_co_u32_e32 v3, vcc, v3, v8
	v_addc_co_u32_e32 v4, vcc, v4, v11, vcc
	v_mul_lo_u32 v8, s0, v4
	v_mul_hi_u32 v11, s0, v3
	v_mul_lo_u32 v12, s1, v3
	v_mul_lo_u32 v13, s0, v3
	v_add_u32_e32 v8, v11, v8
	v_add_u32_e32 v8, v8, v12
	v_mul_lo_u32 v14, v3, v8
	v_mul_hi_u32 v15, v3, v13
	v_mul_hi_u32 v16, v3, v8
	;; [unrolled: 1-line block ×3, first 2 shown]
	v_mul_lo_u32 v13, v4, v13
	v_mul_hi_u32 v11, v4, v8
	v_add_co_u32_e32 v14, vcc, v15, v14
	v_addc_co_u32_e32 v15, vcc, 0, v16, vcc
	v_mul_lo_u32 v8, v4, v8
	v_add_co_u32_e32 v13, vcc, v14, v13
	v_addc_co_u32_e32 v12, vcc, v15, v12, vcc
	v_addc_co_u32_e32 v11, vcc, 0, v11, vcc
	v_add_co_u32_e32 v8, vcc, v12, v8
	v_addc_co_u32_e32 v11, vcc, 0, v11, vcc
	v_add_co_u32_e32 v8, vcc, v3, v8
	v_addc_co_u32_e32 v11, vcc, v4, v11, vcc
	v_mad_u64_u32 v[3:4], s[0:1], v9, v11, 0
	v_mul_hi_u32 v12, v9, v8
	v_add_co_u32_e32 v13, vcc, v12, v3
	v_addc_co_u32_e32 v14, vcc, 0, v4, vcc
	v_mad_u64_u32 v[3:4], s[0:1], v10, v8, 0
	v_mad_u64_u32 v[11:12], s[0:1], v10, v11, 0
	v_add_co_u32_e32 v3, vcc, v13, v3
	v_addc_co_u32_e32 v3, vcc, v14, v4, vcc
	v_addc_co_u32_e32 v4, vcc, 0, v12, vcc
	v_add_co_u32_e32 v8, vcc, v3, v11
	v_addc_co_u32_e32 v11, vcc, 0, v4, vcc
	v_mul_lo_u32 v12, s29, v8
	v_mul_lo_u32 v13, s28, v11
	v_mad_u64_u32 v[3:4], s[0:1], s28, v8, 0
	v_add3_u32 v4, v4, v13, v12
	v_sub_u32_e32 v12, v10, v4
	v_mov_b32_e32 v13, s29
	v_sub_co_u32_e32 v3, vcc, v9, v3
	v_subb_co_u32_e64 v12, s[0:1], v12, v13, vcc
	v_subrev_co_u32_e64 v13, s[0:1], s28, v3
	v_subbrev_co_u32_e64 v12, s[0:1], 0, v12, s[0:1]
	v_cmp_le_u32_e64 s[0:1], s29, v12
	v_cndmask_b32_e64 v14, 0, -1, s[0:1]
	v_cmp_le_u32_e64 s[0:1], s28, v13
	v_cndmask_b32_e64 v13, 0, -1, s[0:1]
	v_cmp_eq_u32_e64 s[0:1], s29, v12
	v_cndmask_b32_e64 v12, v14, v13, s[0:1]
	v_add_co_u32_e64 v13, s[0:1], 2, v8
	v_addc_co_u32_e64 v14, s[0:1], 0, v11, s[0:1]
	v_add_co_u32_e64 v15, s[0:1], 1, v8
	v_addc_co_u32_e64 v16, s[0:1], 0, v11, s[0:1]
	v_subb_co_u32_e32 v4, vcc, v10, v4, vcc
	v_cmp_ne_u32_e64 s[0:1], 0, v12
	v_cmp_le_u32_e32 vcc, s29, v4
	v_cndmask_b32_e64 v12, v16, v14, s[0:1]
	v_cndmask_b32_e64 v14, 0, -1, vcc
	v_cmp_le_u32_e32 vcc, s28, v3
	v_cndmask_b32_e64 v3, 0, -1, vcc
	v_cmp_eq_u32_e32 vcc, s29, v4
	v_cndmask_b32_e32 v3, v14, v3, vcc
	v_cmp_ne_u32_e32 vcc, 0, v3
	v_cndmask_b32_e64 v3, v15, v13, s[0:1]
	v_cndmask_b32_e32 v4, v11, v12, vcc
	v_cndmask_b32_e32 v3, v8, v3, vcc
.LBB0_4:                                ;   in Loop: Header=BB0_2 Depth=1
	s_andn2_saveexec_b64 s[0:1], s[30:31]
	s_cbranch_execz .LBB0_6
; %bb.5:                                ;   in Loop: Header=BB0_2 Depth=1
	v_cvt_f32_u32_e32 v3, s28
	s_sub_i32 s30, 0, s28
	v_rcp_iflag_f32_e32 v3, v3
	v_mul_f32_e32 v3, 0x4f7ffffe, v3
	v_cvt_u32_f32_e32 v3, v3
	v_mul_lo_u32 v4, s30, v3
	v_mul_hi_u32 v4, v3, v4
	v_add_u32_e32 v3, v3, v4
	v_mul_hi_u32 v3, v9, v3
	v_mul_lo_u32 v4, v3, s28
	v_add_u32_e32 v8, 1, v3
	v_sub_u32_e32 v4, v9, v4
	v_subrev_u32_e32 v11, s28, v4
	v_cmp_le_u32_e32 vcc, s28, v4
	v_cndmask_b32_e32 v4, v4, v11, vcc
	v_cndmask_b32_e32 v3, v3, v8, vcc
	v_add_u32_e32 v8, 1, v3
	v_cmp_le_u32_e32 vcc, s28, v4
	v_cndmask_b32_e32 v3, v3, v8, vcc
	v_mov_b32_e32 v4, v7
.LBB0_6:                                ;   in Loop: Header=BB0_2 Depth=1
	s_or_b64 exec, exec, s[0:1]
	v_mul_lo_u32 v8, v4, s28
	v_mul_lo_u32 v13, v3, s29
	v_mad_u64_u32 v[11:12], s[0:1], v3, s28, 0
	s_load_dwordx2 s[0:1], s[22:23], 0x0
	s_load_dwordx2 s[28:29], s[6:7], 0x0
	v_add3_u32 v8, v12, v13, v8
	v_sub_co_u32_e32 v9, vcc, v9, v11
	v_subb_co_u32_e32 v8, vcc, v10, v8, vcc
	s_waitcnt lgkmcnt(0)
	v_mul_lo_u32 v10, s0, v8
	v_mul_lo_u32 v11, s1, v9
	v_mad_u64_u32 v[5:6], s[0:1], s0, v9, v[5:6]
	v_mul_lo_u32 v8, s28, v8
	v_mul_lo_u32 v12, s29, v9
	v_mad_u64_u32 v[1:2], s[0:1], s28, v9, v[1:2]
	s_add_u32 s26, s26, 1
	s_addc_u32 s27, s27, 0
	s_add_u32 s6, s6, 8
	v_add3_u32 v2, v12, v2, v8
	s_addc_u32 s7, s7, 0
	v_mov_b32_e32 v8, s14
	s_add_u32 s22, s22, 8
	v_mov_b32_e32 v9, s15
	s_addc_u32 s23, s23, 0
	v_cmp_ge_u64_e32 vcc, s[26:27], v[8:9]
	s_add_u32 s24, s24, 8
	v_add3_u32 v6, v11, v6, v10
	s_addc_u32 s25, s25, 0
	s_cbranch_vccnz .LBB0_9
; %bb.7:                                ;   in Loop: Header=BB0_2 Depth=1
	v_mov_b32_e32 v10, v4
	v_mov_b32_e32 v9, v3
	s_branch .LBB0_2
.LBB0_8:
	v_mov_b32_e32 v1, v5
	v_mov_b32_e32 v3, v9
	;; [unrolled: 1-line block ×4, first 2 shown]
.LBB0_9:
	s_load_dwordx2 s[0:1], s[4:5], 0x28
	s_lshl_b64 s[14:15], s[14:15], 3
	s_add_u32 s4, s18, s14
	s_addc_u32 s5, s19, s15
                                        ; implicit-def: $sgpr18
                                        ; implicit-def: $vgpr7
                                        ; implicit-def: $vgpr8
                                        ; implicit-def: $vgpr11
                                        ; implicit-def: $vgpr10
                                        ; implicit-def: $vgpr12
                                        ; implicit-def: $vgpr14
                                        ; implicit-def: $vgpr19
	s_waitcnt lgkmcnt(0)
	v_cmp_gt_u64_e32 vcc, s[0:1], v[3:4]
	v_cmp_le_u64_e64 s[0:1], s[0:1], v[3:4]
	s_and_saveexec_b64 s[6:7], s[0:1]
	s_xor_b64 s[0:1], exec, s[6:7]
; %bb.10:
	s_mov_b32 s6, 0x2082083
	v_mul_hi_u32 v5, v0, s6
	s_mov_b32 s18, 0
	v_mul_u32_u24_e32 v5, 0x7e, v5
	v_sub_u32_e32 v7, v0, v5
	v_add_u32_e32 v8, 0x7e, v7
	v_add_u32_e32 v11, 0xfc, v7
	v_add_u32_e32 v10, 0x17a, v7
	v_add_u32_e32 v12, 0x1f8, v7
	v_add_u32_e32 v14, 0x276, v7
	v_add_u32_e32 v19, 0x2f4, v7
                                        ; implicit-def: $vgpr0
                                        ; implicit-def: $vgpr5_vgpr6
; %bb.11:
	s_or_saveexec_b64 s[6:7], s[0:1]
	v_mov_b32_e32 v9, s18
	v_mov_b32_e32 v18, s18
	;; [unrolled: 1-line block ×7, first 2 shown]
                                        ; implicit-def: $vgpr29
                                        ; implicit-def: $vgpr23
                                        ; implicit-def: $vgpr34
                                        ; implicit-def: $vgpr22
                                        ; implicit-def: $vgpr33
                                        ; implicit-def: $vgpr15
                                        ; implicit-def: $vgpr32
                                        ; implicit-def: $vgpr13
                                        ; implicit-def: $vgpr31
                                        ; implicit-def: $vgpr27
                                        ; implicit-def: $vgpr28
                                        ; implicit-def: $vgpr24
                                        ; implicit-def: $vgpr26
                                        ; implicit-def: $vgpr25
	s_xor_b64 exec, exec, s[6:7]
	s_cbranch_execz .LBB0_13
; %bb.12:
	s_add_u32 s0, s16, s14
	s_mov_b32 s14, 0x2082083
	v_mul_hi_u32 v7, v0, s14
	s_addc_u32 s1, s17, s15
	s_load_dwordx2 s[0:1], s[0:1], 0x0
	v_lshlrev_b64 v[5:6], 2, v[5:6]
	v_mul_u32_u24_e32 v7, 0x7e, v7
	v_sub_u32_e32 v7, v0, v7
	v_mad_u64_u32 v[8:9], s[14:15], s20, v7, 0
	s_waitcnt lgkmcnt(0)
	v_mul_lo_u32 v14, s1, v3
	v_mul_lo_u32 v15, s0, v4
	v_mad_u64_u32 v[10:11], s[0:1], s0, v3, 0
	v_mov_b32_e32 v0, v9
	v_mad_u64_u32 v[12:13], s[0:1], s21, v7, v[0:1]
	v_add3_u32 v11, v11, v15, v14
	v_lshlrev_b64 v[10:11], 2, v[10:11]
	v_mov_b32_e32 v9, v12
	v_mov_b32_e32 v0, s9
	v_add_co_u32_e64 v12, s[0:1], s8, v10
	v_add_u32_e32 v13, 0x372, v7
	v_addc_co_u32_e64 v0, s[0:1], v0, v11, s[0:1]
	v_mad_u64_u32 v[10:11], s[0:1], s20, v13, 0
	v_add_co_u32_e64 v40, s[0:1], v12, v5
	v_addc_co_u32_e64 v41, s[0:1], v0, v6, s[0:1]
	v_mov_b32_e32 v0, v11
	v_lshlrev_b64 v[5:6], 2, v[8:9]
	v_mad_u64_u32 v[11:12], s[0:1], s21, v13, v[0:1]
	v_add_u32_e32 v8, 0x7e, v7
	v_mad_u64_u32 v[12:13], s[0:1], s20, v8, 0
	v_add_co_u32_e64 v5, s[0:1], v40, v5
	v_mov_b32_e32 v0, v13
	v_addc_co_u32_e64 v6, s[0:1], v41, v6, s[0:1]
	v_lshlrev_b64 v[9:10], 2, v[10:11]
	v_mad_u64_u32 v[13:14], s[0:1], s21, v8, v[0:1]
	v_add_u32_e32 v11, 0x3f0, v7
	v_mad_u64_u32 v[14:15], s[0:1], s20, v11, 0
	v_add_co_u32_e64 v19, s[0:1], v40, v9
	v_mov_b32_e32 v0, v15
	v_addc_co_u32_e64 v20, s[0:1], v41, v10, s[0:1]
	;; [unrolled: 7-line block ×3, first 2 shown]
	v_mov_b32_e32 v15, v12
	v_mad_u64_u32 v[12:13], s[0:1], s21, v11, v[0:1]
	v_add_u32_e32 v18, 0x46e, v7
	v_lshlrev_b64 v[9:10], 2, v[14:15]
	v_mad_u64_u32 v[13:14], s[0:1], s20, v18, 0
	v_add_co_u32_e64 v26, s[0:1], v40, v9
	v_mov_b32_e32 v0, v14
	v_addc_co_u32_e64 v27, s[0:1], v41, v10, s[0:1]
	v_mad_u64_u32 v[9:10], s[0:1], s21, v18, v[0:1]
	v_mov_b32_e32 v17, v12
	v_add_u32_e32 v10, 0x17a, v7
	v_lshlrev_b64 v[15:16], 2, v[16:17]
	v_mad_u64_u32 v[17:18], s[0:1], s20, v10, 0
	v_add_co_u32_e64 v28, s[0:1], v40, v15
	v_mov_b32_e32 v14, v9
	v_mov_b32_e32 v0, v18
	v_addc_co_u32_e64 v29, s[0:1], v41, v16, s[0:1]
	v_lshlrev_b64 v[12:13], 2, v[13:14]
	v_mad_u64_u32 v[14:15], s[0:1], s21, v10, v[0:1]
	v_add_u32_e32 v9, 0x4ec, v7
	v_mad_u64_u32 v[15:16], s[0:1], s20, v9, 0
	v_add_co_u32_e64 v30, s[0:1], v40, v12
	v_mov_b32_e32 v18, v14
	v_mov_b32_e32 v0, v16
	v_addc_co_u32_e64 v31, s[0:1], v41, v13, s[0:1]
	v_lshlrev_b64 v[12:13], 2, v[17:18]
	v_mad_u64_u32 v[16:17], s[0:1], s21, v9, v[0:1]
	v_add_co_u32_e64 v32, s[0:1], v40, v12
	v_add_u32_e32 v12, 0x1f8, v7
	v_addc_co_u32_e64 v33, s[0:1], v41, v13, s[0:1]
	v_mad_u64_u32 v[34:35], s[0:1], s20, v12, 0
	v_lshlrev_b64 v[13:14], 2, v[15:16]
	v_add_u32_e32 v21, 0x56a, v7
	v_add_co_u32_e64 v36, s[0:1], v40, v13
	v_addc_co_u32_e64 v37, s[0:1], v41, v14, s[0:1]
	v_mov_b32_e32 v0, v35
	v_mad_u64_u32 v[38:39], s[0:1], s20, v21, 0
	v_mad_u64_u32 v[14:15], s[0:1], s21, v12, v[0:1]
	v_mov_b32_e32 v0, v39
	global_load_dword v9, v[5:6], off
	global_load_dword v23, v[19:20], off
	;; [unrolled: 1-line block ×8, first 2 shown]
	v_mov_b32_e32 v35, v14
	v_mad_u64_u32 v[19:20], s[0:1], s21, v21, v[0:1]
	v_add_u32_e32 v14, 0x276, v7
	v_mad_u64_u32 v[20:21], s[0:1], s20, v14, 0
	v_lshlrev_b64 v[5:6], 2, v[34:35]
	v_add_u32_e32 v31, 0x5e8, v7
	v_add_co_u32_e64 v5, s[0:1], v40, v5
	v_mov_b32_e32 v0, v21
	v_addc_co_u32_e64 v6, s[0:1], v41, v6, s[0:1]
	v_mad_u64_u32 v[26:27], s[0:1], s21, v14, v[0:1]
	v_mad_u64_u32 v[27:28], s[0:1], s20, v31, 0
	v_mov_b32_e32 v39, v19
	v_lshlrev_b64 v[24:25], 2, v[38:39]
	v_mov_b32_e32 v21, v26
	v_add_co_u32_e64 v29, s[0:1], v40, v24
	v_mov_b32_e32 v0, v28
	v_addc_co_u32_e64 v30, s[0:1], v41, v25, s[0:1]
	v_lshlrev_b64 v[19:20], 2, v[20:21]
	v_mad_u64_u32 v[24:25], s[0:1], s21, v31, v[0:1]
	v_add_co_u32_e64 v25, s[0:1], v40, v19
	v_add_u32_e32 v19, 0x2f4, v7
	v_addc_co_u32_e64 v26, s[0:1], v41, v20, s[0:1]
	v_mad_u64_u32 v[31:32], s[0:1], s20, v19, 0
	v_mov_b32_e32 v28, v24
	v_lshlrev_b64 v[20:21], 2, v[27:28]
	v_mov_b32_e32 v0, v32
	v_add_co_u32_e64 v33, s[0:1], v40, v20
	v_addc_co_u32_e64 v34, s[0:1], v41, v21, s[0:1]
	v_mad_u64_u32 v[35:36], s[0:1], s21, v19, v[0:1]
	v_add_u32_e32 v28, 0x666, v7
	v_mad_u64_u32 v[36:37], s[0:1], s20, v28, 0
	global_load_dword v21, v[5:6], off
	global_load_dword v27, v[29:30], off
	;; [unrolled: 1-line block ×4, first 2 shown]
	v_mov_b32_e32 v32, v35
	v_mov_b32_e32 v0, v37
	v_mad_u64_u32 v[25:26], s[0:1], s21, v28, v[0:1]
	v_lshlrev_b64 v[5:6], 2, v[31:32]
	v_mov_b32_e32 v37, v25
	v_add_co_u32_e64 v5, s[0:1], v40, v5
	v_lshlrev_b64 v[25:26], 2, v[36:37]
	v_addc_co_u32_e64 v6, s[0:1], v41, v6, s[0:1]
	v_add_co_u32_e64 v28, s[0:1], v40, v25
	v_addc_co_u32_e64 v29, s[0:1], v41, v26, s[0:1]
	global_load_dword v25, v[28:29], off
	global_load_dword v30, v[5:6], off
	s_waitcnt vmcnt(12)
	v_lshrrev_b32_e32 v29, 16, v23
	s_waitcnt vmcnt(10)
	v_lshrrev_b32_e32 v34, 16, v22
	;; [unrolled: 2-line block ×7, first 2 shown]
.LBB0_13:
	s_or_b64 exec, exec, s[6:7]
	v_sub_f16_e32 v5, v9, v23
	v_lshrrev_b32_e32 v0, 16, v9
	v_fma_f16 v6, v9, 2.0, -v5
	v_sub_f16_e32 v9, v18, v22
	v_fma_f16 v22, v18, 2.0, -v9
	v_sub_f16_e32 v15, v17, v15
	v_sub_f16_e32 v23, v0, v29
	v_fma_f16 v29, v17, 2.0, -v15
	v_sub_f16_e32 v13, v16, v13
	v_sub_f16_e32 v27, v21, v27
	v_pack_b32_f16 v5, v6, v5
	v_lshl_add_u32 v36, v7, 2, 0
	v_pack_b32_f16 v9, v22, v9
	v_lshl_add_u32 v6, v8, 2, 0
	v_fma_f16 v35, v16, 2.0, -v13
	ds_write_b32 v36, v5
	v_fma_f16 v5, v21, 2.0, -v27
	v_sub_f16_e32 v24, v20, v24
	ds_write_b32 v6, v9
	v_pack_b32_f16 v15, v29, v15
	v_lshl_add_u32 v9, v11, 2, 0
	v_fma_f16 v22, v20, 2.0, -v24
	s_waitcnt vmcnt(0)
	v_sub_f16_e32 v25, v30, v25
	ds_write_b32 v9, v15
	v_pack_b32_f16 v13, v35, v13
	v_lshl_add_u32 v15, v10, 2, 0
	v_pack_b32_f16 v5, v5, v27
	v_lshl_add_u32 v42, v12, 2, 0
	v_fma_f16 v29, v30, 2.0, -v25
	ds_write_b32 v15, v13
	ds_write_b32 v42, v5
	v_pack_b32_f16 v5, v22, v24
	v_lshl_add_u32 v35, v14, 2, 0
	v_fma_f16 v0, v0, 2.0, -v23
	v_lshlrev_b32_e32 v43, 1, v8
	ds_write_b32 v35, v5
	v_pack_b32_f16 v5, v29, v25
	v_lshl_add_u32 v13, v19, 2, 0
	v_lshlrev_b32_e32 v40, 1, v7
	v_lshlrev_b32_e32 v48, 1, v11
	ds_write_b32 v13, v5
	v_lshlrev_b32_e32 v61, 1, v10
	v_pack_b32_f16 v5, v0, v23
	v_lshlrev_b32_e32 v45, 1, v12
	v_lshlrev_b32_e32 v47, 1, v14
	;; [unrolled: 1-line block ×3, first 2 shown]
	v_sub_u32_e32 v62, v6, v43
	s_load_dwordx2 s[4:5], s[4:5], 0x0
	s_waitcnt lgkmcnt(0)
	s_barrier
	v_sub_u32_e32 v0, v36, v40
	v_sub_u32_e32 v49, v9, v48
	;; [unrolled: 1-line block ×6, first 2 shown]
	ds_read_u16 v50, v62
	ds_read_u16 v52, v49
	;; [unrolled: 1-line block ×7, first 2 shown]
	ds_read_u16 v29, v0 offset:1764
	ds_read_u16 v27, v0 offset:2016
	;; [unrolled: 1-line block ×7, first 2 shown]
	s_waitcnt lgkmcnt(0)
	s_barrier
	ds_write_b32 v36, v5
	v_lshrrev_b32_e32 v5, 16, v18
	v_sub_f16_e32 v18, v5, v34
	v_fma_f16 v5, v5, 2.0, -v18
	v_pack_b32_f16 v5, v5, v18
	ds_write_b32 v6, v5
	v_lshrrev_b32_e32 v5, 16, v17
	v_sub_f16_e32 v17, v5, v33
	v_fma_f16 v5, v5, 2.0, -v17
	v_pack_b32_f16 v5, v5, v17
	;; [unrolled: 5-line block ×6, first 2 shown]
	v_and_b32_e32 v18, 1, v7
	ds_write_b32 v13, v5
	v_lshlrev_b32_e32 v5, 2, v18
	s_waitcnt lgkmcnt(0)
	s_barrier
	global_load_dword v28, v5, s[12:13]
	ds_read_u16 v26, v37
	ds_read_u16 v16, v38
	ds_read_u16 v30, v0 offset:1764
	ds_read_u16 v44, v0 offset:2016
	;; [unrolled: 1-line block ×7, first 2 shown]
	ds_read_u16 v32, v0
	s_movk_i32 s0, 0xfc
	v_and_or_b32 v20, v40, s0, v18
	ds_read_u16 v37, v62
	ds_read_u16 v34, v49
	ds_read_u16 v31, v46
	ds_read_u16 v35, v51
	v_lshl_add_u32 v46, v20, 1, 0
	s_waitcnt vmcnt(0) lgkmcnt(0)
	s_barrier
	s_movk_i32 s0, 0x1fc
	v_and_or_b32 v20, v43, s0, v18
	s_movk_i32 s0, 0x3fc
	s_movk_i32 s1, 0x5fc
	v_sub_u32_e32 v59, 0, v43
	v_mul_f16_sdwa v5, v30, v28 dst_sel:DWORD dst_unused:UNUSED_PAD src0_sel:DWORD src1_sel:WORD_1
	v_fma_f16 v5, v29, v28, -v5
	v_sub_f16_e32 v5, v53, v5
	v_fma_f16 v17, v53, 2.0, -v5
	ds_write_b16 v46, v17
	ds_write_b16 v46, v5 offset:4
	v_mul_f16_sdwa v5, v44, v28 dst_sel:DWORD dst_unused:UNUSED_PAD src0_sel:DWORD src1_sel:WORD_1
	v_fma_f16 v5, v27, v28, -v5
	v_sub_f16_e32 v5, v50, v5
	v_fma_f16 v17, v50, 2.0, -v5
	v_lshl_add_u32 v50, v20, 1, 0
	ds_write_b16 v50, v17
	ds_write_b16 v50, v5 offset:4
	v_mul_f16_sdwa v5, v41, v28 dst_sel:DWORD dst_unused:UNUSED_PAD src0_sel:DWORD src1_sel:WORD_1
	v_fma_f16 v5, v25, v28, -v5
	v_sub_f16_e32 v5, v52, v5
	v_and_or_b32 v20, v48, s0, v18
	v_fma_f16 v17, v52, 2.0, -v5
	v_lshl_add_u32 v53, v20, 1, 0
	ds_write_b16 v53, v17
	ds_write_b16 v53, v5 offset:4
	v_mul_f16_sdwa v5, v39, v28 dst_sel:DWORD dst_unused:UNUSED_PAD src0_sel:DWORD src1_sel:WORD_1
	v_fma_f16 v5, v24, v28, -v5
	v_sub_f16_e32 v5, v54, v5
	v_and_or_b32 v20, v61, s0, v18
	v_fma_f16 v17, v54, 2.0, -v5
	v_lshl_add_u32 v54, v20, 1, 0
	ds_write_b16 v54, v17
	ds_write_b16 v54, v5 offset:4
	v_mul_f16_sdwa v5, v38, v28 dst_sel:DWORD dst_unused:UNUSED_PAD src0_sel:DWORD src1_sel:WORD_1
	v_fma_f16 v5, v23, v28, -v5
	s_movk_i32 s0, 0x7fc
	v_sub_f16_e32 v5, v55, v5
	v_and_or_b32 v20, v45, s0, v18
	v_fma_f16 v17, v55, 2.0, -v5
	v_lshl_add_u32 v56, v20, 1, 0
	ds_write_b16 v56, v17
	ds_write_b16 v56, v5 offset:4
	v_mul_f16_sdwa v5, v36, v28 dst_sel:DWORD dst_unused:UNUSED_PAD src0_sel:DWORD src1_sel:WORD_1
	v_fma_f16 v5, v22, v28, -v5
	v_sub_f16_e32 v5, v57, v5
	v_and_or_b32 v20, v47, s1, v18
	v_fma_f16 v17, v57, 2.0, -v5
	v_lshl_add_u32 v58, v20, 1, 0
	ds_write_b16 v58, v17
	ds_write_b16 v58, v5 offset:4
	v_mul_f16_sdwa v17, v33, v28 dst_sel:DWORD dst_unused:UNUSED_PAD src0_sel:DWORD src1_sel:WORD_1
	v_fma_f16 v17, v19, v28, -v17
	v_sub_f16_e32 v40, v60, v17
	v_and_or_b32 v18, v14, s0, v18
	v_sub_u32_e32 v5, 0, v45
	v_fma_f16 v17, v60, 2.0, -v40
	v_lshl_add_u32 v60, v18, 1, 0
	v_add_u32_e32 v5, v42, v5
	ds_write_b16 v60, v17
	ds_write_b16 v60, v40 offset:4
	s_waitcnt lgkmcnt(0)
	s_barrier
	ds_read_u16 v20, v49
	ds_read_u16 v18, v51
	ds_read_u16 v49, v0
	ds_read_u16 v55, v0 offset:1176
	ds_read_u16 v51, v0 offset:1428
	ds_read_u16 v47, v0 offset:1680
	ds_read_u16 v45, v0 offset:2856
	ds_read_u16 v52, v0 offset:2604
	ds_read_u16 v57, v0 offset:2352
	ds_read_u16 v43, v0 offset:1932
	ds_read_u16 v21, v62
	ds_read_u16 v42, v0 offset:3108
	s_movk_i32 s0, 0x54
	v_sub_u32_e32 v62, 0, v48
	v_sub_u32_e32 v61, 0, v61
	v_cmp_gt_u32_e64 s[0:1], s0, v7
                                        ; implicit-def: $vgpr48
	s_and_saveexec_b64 s[6:7], s[0:1]
	s_cbranch_execz .LBB0_15
; %bb.14:
	ds_read_u16 v40, v0 offset:2184
	ds_read_u16 v17, v5
	ds_read_u16 v48, v0 offset:3360
.LBB0_15:
	s_or_b64 exec, exec, s[6:7]
	v_mul_f16_sdwa v29, v29, v28 dst_sel:DWORD dst_unused:UNUSED_PAD src0_sel:DWORD src1_sel:WORD_1
	v_mul_f16_sdwa v25, v25, v28 dst_sel:DWORD dst_unused:UNUSED_PAD src0_sel:DWORD src1_sel:WORD_1
	v_fma_f16 v29, v30, v28, v29
	v_mul_f16_sdwa v27, v27, v28 dst_sel:DWORD dst_unused:UNUSED_PAD src0_sel:DWORD src1_sel:WORD_1
	v_fma_f16 v25, v41, v28, v25
	v_mul_f16_sdwa v24, v24, v28 dst_sel:DWORD dst_unused:UNUSED_PAD src0_sel:DWORD src1_sel:WORD_1
	v_mul_f16_sdwa v23, v23, v28 dst_sel:DWORD dst_unused:UNUSED_PAD src0_sel:DWORD src1_sel:WORD_1
	;; [unrolled: 1-line block ×4, first 2 shown]
	v_fma_f16 v27, v44, v28, v27
	v_fma_f16 v24, v39, v28, v24
	;; [unrolled: 1-line block ×5, first 2 shown]
	v_sub_f16_e32 v28, v32, v29
	v_sub_f16_e32 v25, v34, v25
	v_fma_f16 v29, v32, 2.0, -v28
	v_fma_f16 v32, v34, 2.0, -v25
	v_sub_f16_e32 v24, v35, v24
	v_sub_f16_e32 v34, v31, v23
	;; [unrolled: 1-line block ×4, first 2 shown]
	v_fma_f16 v33, v35, 2.0, -v24
	v_fma_f16 v31, v31, 2.0, -v34
	;; [unrolled: 1-line block ×3, first 2 shown]
	v_sub_f16_e32 v19, v16, v19
	v_add_u32_e32 v9, v9, v62
	v_fma_f16 v30, v37, 2.0, -v27
	v_fma_f16 v23, v16, 2.0, -v19
	s_waitcnt lgkmcnt(0)
	s_barrier
	ds_write_b16 v46, v29
	ds_write_b16 v46, v28 offset:4
	ds_write_b16 v50, v30
	ds_write_b16 v50, v27 offset:4
	;; [unrolled: 2-line block ×7, first 2 shown]
	s_waitcnt lgkmcnt(0)
	s_barrier
	v_add_u32_e32 v6, v6, v59
	ds_read_u16 v26, v0
	ds_read_u16 v29, v0 offset:1176
	ds_read_u16 v34, v0 offset:1428
	;; [unrolled: 1-line block ×5, first 2 shown]
	v_add_u32_e32 v22, v15, v61
	ds_read_u16 v25, v9
	ds_read_u16 v16, v22
	ds_read_u16 v31, v0 offset:2352
	ds_read_u16 v44, v0 offset:1932
	ds_read_u16 v27, v6
	ds_read_u16 v46, v0 offset:3108
                                        ; implicit-def: $vgpr15
	s_and_saveexec_b64 s[6:7], s[0:1]
	s_cbranch_execz .LBB0_17
; %bb.16:
	ds_read_u16 v19, v0 offset:2184
	ds_read_u16 v23, v5
	ds_read_u16 v15, v0 offset:3360
.LBB0_17:
	s_or_b64 exec, exec, s[6:7]
	v_and_b32_e32 v24, 3, v7
	v_lshlrev_b32_e32 v28, 3, v24
	global_load_dwordx2 v[53:54], v28, s[12:13] offset:8
	s_movk_i32 s6, 0x3aee
	s_mov_b32 s7, 0xbaee
	s_waitcnt vmcnt(0) lgkmcnt(10)
	v_mul_f16_sdwa v28, v29, v53 dst_sel:DWORD dst_unused:UNUSED_PAD src0_sel:DWORD src1_sel:WORD_1
	v_fma_f16 v28, v55, v53, -v28
	v_mul_f16_sdwa v30, v55, v53 dst_sel:DWORD dst_unused:UNUSED_PAD src0_sel:DWORD src1_sel:WORD_1
	v_mul_f16_sdwa v32, v57, v54 dst_sel:DWORD dst_unused:UNUSED_PAD src0_sel:DWORD src1_sel:WORD_1
	v_and_b32_e32 v55, 3, v8
	v_fma_f16 v29, v29, v53, v30
	s_waitcnt lgkmcnt(3)
	v_mul_f16_sdwa v30, v31, v54 dst_sel:DWORD dst_unused:UNUSED_PAD src0_sel:DWORD src1_sel:WORD_1
	v_fma_f16 v31, v31, v54, v32
	v_lshlrev_b32_e32 v32, 3, v55
	global_load_dwordx2 v[37:38], v32, s[12:13] offset:8
	v_mul_f16_sdwa v41, v45, v54 dst_sel:DWORD dst_unused:UNUSED_PAD src0_sel:DWORD src1_sel:WORD_1
	v_fma_f16 v30, v57, v54, -v30
	s_waitcnt vmcnt(0)
	v_mul_f16_sdwa v32, v34, v37 dst_sel:DWORD dst_unused:UNUSED_PAD src0_sel:DWORD src1_sel:WORD_1
	v_mul_f16_sdwa v35, v51, v37 dst_sel:DWORD dst_unused:UNUSED_PAD src0_sel:DWORD src1_sel:WORD_1
	v_fma_f16 v32, v51, v37, -v32
	v_fma_f16 v34, v34, v37, v35
	v_mul_f16_sdwa v35, v33, v38 dst_sel:DWORD dst_unused:UNUSED_PAD src0_sel:DWORD src1_sel:WORD_1
	v_mul_f16_sdwa v37, v52, v38 dst_sel:DWORD dst_unused:UNUSED_PAD src0_sel:DWORD src1_sel:WORD_1
	v_fma_f16 v35, v52, v38, -v35
	v_fma_f16 v38, v33, v38, v37
	v_mul_f16_sdwa v37, v47, v53 dst_sel:DWORD dst_unused:UNUSED_PAD src0_sel:DWORD src1_sel:WORD_1
	v_and_b32_e32 v52, 3, v10
	v_mul_f16_sdwa v33, v36, v53 dst_sel:DWORD dst_unused:UNUSED_PAD src0_sel:DWORD src1_sel:WORD_1
	v_fma_f16 v36, v36, v53, v37
	v_mul_f16_sdwa v37, v39, v54 dst_sel:DWORD dst_unused:UNUSED_PAD src0_sel:DWORD src1_sel:WORD_1
	v_fma_f16 v39, v39, v54, v41
	v_lshlrev_b32_e32 v41, 3, v52
	global_load_dwordx2 v[50:51], v41, s[12:13] offset:8
	v_fma_f16 v33, v47, v53, -v33
	v_fma_f16 v37, v45, v54, -v37
	s_waitcnt vmcnt(0) lgkmcnt(0)
	s_barrier
	v_mul_f16_sdwa v41, v44, v50 dst_sel:DWORD dst_unused:UNUSED_PAD src0_sel:DWORD src1_sel:WORD_1
	v_fma_f16 v41, v43, v50, -v41
	v_mul_f16_sdwa v43, v43, v50 dst_sel:DWORD dst_unused:UNUSED_PAD src0_sel:DWORD src1_sel:WORD_1
	v_fma_f16 v43, v44, v50, v43
	v_mul_f16_sdwa v44, v46, v51 dst_sel:DWORD dst_unused:UNUSED_PAD src0_sel:DWORD src1_sel:WORD_1
	v_fma_f16 v44, v42, v51, -v44
	v_mul_f16_sdwa v42, v42, v51 dst_sel:DWORD dst_unused:UNUSED_PAD src0_sel:DWORD src1_sel:WORD_1
	v_fma_f16 v47, v46, v51, v42
	;; [unrolled: 4-line block ×4, first 2 shown]
	v_add_f16_e32 v15, v49, v28
	v_add_f16_e32 v19, v15, v30
	v_add_f16_e32 v15, v28, v30
	v_fma_f16 v15, v15, -0.5, v49
	v_sub_f16_e32 v40, v29, v31
	v_fma_f16 v49, v40, s6, v15
	v_fma_f16 v40, v40, s7, v15
	v_add_f16_e32 v15, v21, v32
	v_add_f16_e32 v50, v15, v35
	v_add_f16_e32 v15, v32, v35
	v_fma_f16 v15, v15, -0.5, v21
	v_sub_f16_e32 v21, v34, v38
	v_fma_f16 v51, v21, s6, v15
	v_fma_f16 v21, v21, s7, v15
	;; [unrolled: 7-line block ×4, first 2 shown]
	v_add_f16_e32 v18, v42, v46
	v_add_f16_e32 v15, v17, v42
	v_fma_f16 v17, v18, -0.5, v17
	v_sub_f16_e32 v57, v45, v48
	v_fma_f16 v18, v57, s6, v17
	v_fma_f16 v17, v57, s7, v17
	v_lshrrev_b32_e32 v57, 2, v7
	v_mul_u32_u24_e32 v57, 12, v57
	v_or_b32_e32 v57, v57, v24
	v_lshl_add_u32 v57, v57, 1, 0
	ds_write_b16 v57, v19
	ds_write_b16 v57, v49 offset:8
	ds_write_b16 v57, v40 offset:16
	v_lshrrev_b32_e32 v19, 2, v8
	v_mul_lo_u32 v19, v19, 12
	v_add_f16_e32 v15, v15, v46
	v_or_b32_e32 v19, v19, v55
	v_lshl_add_u32 v58, v19, 1, 0
	v_lshrrev_b32_e32 v19, 2, v11
	v_mul_lo_u32 v19, v19, 12
	ds_write_b16 v58, v50
	ds_write_b16 v58, v51 offset:8
	ds_write_b16 v58, v21 offset:16
	v_or_b32_e32 v19, v19, v24
	v_lshl_add_u32 v59, v19, 1, 0
	v_lshrrev_b32_e32 v19, 2, v10
	v_mul_lo_u32 v19, v19, 12
	ds_write_b16 v59, v53
	ds_write_b16 v59, v54 offset:8
	ds_write_b16 v59, v20 offset:16
	v_or_b32_e32 v19, v19, v52
	v_lshl_add_u32 v61, v19, 1, 0
	ds_write_b16 v61, v56
	ds_write_b16 v61, v60 offset:8
	ds_write_b16 v61, v62 offset:16
	v_lshrrev_b32_e32 v60, 2, v12
	s_and_saveexec_b64 s[6:7], s[0:1]
	s_cbranch_execz .LBB0_19
; %bb.18:
	v_mul_lo_u32 v19, v60, 12
	v_or_b32_e32 v19, v19, v24
	v_lshl_add_u32 v19, v19, 1, 0
	ds_write_b16 v19, v15
	ds_write_b16 v19, v18 offset:8
	ds_write_b16 v19, v17 offset:16
.LBB0_19:
	s_or_b64 exec, exec, s[6:7]
	s_waitcnt lgkmcnt(0)
	s_barrier
	ds_read_u16 v40, v0
	ds_read_u16 v55, v0 offset:1176
	ds_read_u16 v53, v0 offset:1428
	;; [unrolled: 1-line block ×5, first 2 shown]
	ds_read_u16 v20, v9
	ds_read_u16 v19, v22
	ds_read_u16 v56, v0 offset:2352
	ds_read_u16 v50, v0 offset:1932
	ds_read_u16 v21, v6
	ds_read_u16 v49, v0 offset:3108
	s_and_saveexec_b64 s[6:7], s[0:1]
	s_cbranch_execz .LBB0_21
; %bb.20:
	ds_read_u16 v18, v0 offset:2184
	ds_read_u16 v15, v5
	ds_read_u16 v17, v0 offset:3360
.LBB0_21:
	s_or_b64 exec, exec, s[6:7]
	v_add_f16_e32 v62, v26, v29
	v_add_f16_e32 v29, v29, v31
	v_fma_f16 v26, v29, -0.5, v26
	v_sub_f16_e32 v28, v28, v30
	s_mov_b32 s6, 0xbaee
	s_movk_i32 s7, 0x3aee
	v_add_f16_e32 v30, v34, v38
	v_fma_f16 v29, v28, s6, v26
	v_fma_f16 v26, v28, s7, v26
	v_add_f16_e32 v28, v27, v34
	v_fma_f16 v27, v30, -0.5, v27
	v_sub_f16_e32 v30, v32, v35
	v_add_f16_e32 v32, v36, v39
	v_add_f16_e32 v62, v62, v31
	v_fma_f16 v31, v30, s6, v27
	v_fma_f16 v27, v30, s7, v27
	v_add_f16_e32 v30, v25, v36
	v_fma_f16 v25, v32, -0.5, v25
	v_sub_f16_e32 v32, v33, v37
	v_add_f16_e32 v34, v43, v47
	v_fma_f16 v33, v32, s6, v25
	v_fma_f16 v25, v32, s7, v25
	v_add_f16_e32 v32, v16, v43
	v_fma_f16 v16, v34, -0.5, v16
	v_sub_f16_e32 v34, v41, v44
	;; [unrolled: 6-line block ×3, first 2 shown]
	v_add_f16_e32 v28, v28, v38
	v_add_f16_e32 v16, v16, v48
	v_fma_f16 v38, v36, s6, v23
	v_fma_f16 v43, v36, s7, v23
	v_add_f16_e32 v30, v30, v39
	v_add_f16_e32 v32, v32, v47
	s_waitcnt lgkmcnt(0)
	s_barrier
	ds_write_b16 v57, v62
	ds_write_b16 v57, v29 offset:8
	ds_write_b16 v57, v26 offset:16
	ds_write_b16 v58, v28
	ds_write_b16 v58, v31 offset:8
	ds_write_b16 v58, v27 offset:16
	;; [unrolled: 3-line block ×4, first 2 shown]
	s_and_saveexec_b64 s[6:7], s[0:1]
	s_cbranch_execz .LBB0_23
; %bb.22:
	v_mul_lo_u32 v23, v60, 12
	v_or_b32_e32 v23, v23, v24
	v_lshl_add_u32 v23, v23, 1, 0
	ds_write_b16 v23, v16
	ds_write_b16 v23, v38 offset:8
	ds_write_b16 v23, v43 offset:16
.LBB0_23:
	s_or_b64 exec, exec, s[6:7]
	s_waitcnt lgkmcnt(0)
	s_barrier
	ds_read_u16 v24, v0
	ds_read_u16 v27, v0 offset:1176
	ds_read_u16 v31, v0 offset:1428
	;; [unrolled: 1-line block ×5, first 2 shown]
	ds_read_u16 v23, v9
	ds_read_u16 v22, v22
	ds_read_u16 v29, v0 offset:2352
	ds_read_u16 v39, v0 offset:1932
	ds_read_u16 v25, v6
	ds_read_u16 v36, v0 offset:3108
	s_and_saveexec_b64 s[6:7], s[0:1]
	s_cbranch_execz .LBB0_25
; %bb.24:
	ds_read_u16 v38, v0 offset:2184
	ds_read_u16 v16, v5
	ds_read_u16 v43, v0 offset:3360
.LBB0_25:
	s_or_b64 exec, exec, s[6:7]
	s_movk_i32 s6, 0xab
	v_mul_lo_u16_sdwa v26, v7, s6 dst_sel:DWORD dst_unused:UNUSED_PAD src0_sel:BYTE_0 src1_sel:DWORD
	v_lshrrev_b16_e32 v46, 11, v26
	v_mul_lo_u16_e32 v26, 12, v46
	v_sub_u16_e32 v26, v7, v26
	v_mov_b32_e32 v30, 1
	v_mov_b32_e32 v32, 3
	v_lshlrev_b32_sdwa v47, v30, v26 dst_sel:DWORD dst_unused:UNUSED_PAD src0_sel:DWORD src1_sel:BYTE_0
	v_lshlrev_b32_sdwa v26, v32, v26 dst_sel:DWORD dst_unused:UNUSED_PAD src0_sel:DWORD src1_sel:BYTE_0
	global_load_dwordx2 v[41:42], v26, s[12:13] offset:40
	s_movk_i32 s8, 0x3aee
	s_mov_b32 s9, 0xbaee
	v_sub_u32_e32 v14, 0, v14
	s_waitcnt vmcnt(0)
	v_mul_f16_sdwa v28, v55, v41 dst_sel:DWORD dst_unused:UNUSED_PAD src0_sel:DWORD src1_sel:WORD_1
	v_mul_f16_sdwa v35, v56, v42 dst_sel:DWORD dst_unused:UNUSED_PAD src0_sel:DWORD src1_sel:WORD_1
	s_waitcnt lgkmcnt(10)
	v_mul_f16_sdwa v26, v27, v41 dst_sel:DWORD dst_unused:UNUSED_PAD src0_sel:DWORD src1_sel:WORD_1
	v_fma_f16 v27, v27, v41, v28
	s_waitcnt lgkmcnt(3)
	v_mul_f16_sdwa v28, v29, v42 dst_sel:DWORD dst_unused:UNUSED_PAD src0_sel:DWORD src1_sel:WORD_1
	v_fma_f16 v29, v29, v42, v35
	v_mul_lo_u16_sdwa v35, v8, s6 dst_sel:DWORD dst_unused:UNUSED_PAD src0_sel:BYTE_0 src1_sel:DWORD
	v_lshrrev_b16_e32 v48, 11, v35
	v_mul_lo_u16_e32 v35, 12, v48
	v_sub_u16_e32 v35, v8, v35
	v_fma_f16 v26, v55, v41, -v26
	v_lshlrev_b32_sdwa v55, v30, v35 dst_sel:DWORD dst_unused:UNUSED_PAD src0_sel:DWORD src1_sel:BYTE_0
	v_lshlrev_b32_sdwa v30, v32, v35 dst_sel:DWORD dst_unused:UNUSED_PAD src0_sel:DWORD src1_sel:BYTE_0
	v_fma_f16 v28, v56, v42, -v28
	global_load_dwordx2 v[41:42], v30, s[12:13] offset:40
	s_mov_b32 s6, 0xaaab
	s_waitcnt vmcnt(0)
	v_mul_f16_sdwa v32, v53, v41 dst_sel:DWORD dst_unused:UNUSED_PAD src0_sel:DWORD src1_sel:WORD_1
	v_mul_f16_sdwa v35, v54, v42 dst_sel:DWORD dst_unused:UNUSED_PAD src0_sel:DWORD src1_sel:WORD_1
	;; [unrolled: 1-line block ×3, first 2 shown]
	v_fma_f16 v31, v31, v41, v32
	v_mul_f16_sdwa v32, v33, v42 dst_sel:DWORD dst_unused:UNUSED_PAD src0_sel:DWORD src1_sel:WORD_1
	v_fma_f16 v33, v33, v42, v35
	v_mul_u32_u24_sdwa v35, v11, s6 dst_sel:DWORD dst_unused:UNUSED_PAD src0_sel:WORD_0 src1_sel:DWORD
	v_fma_f16 v30, v53, v41, -v30
	v_lshrrev_b32_e32 v53, 19, v35
	v_mul_lo_u16_e32 v35, 12, v53
	v_sub_u16_e32 v11, v11, v35
	v_fma_f16 v32, v54, v42, -v32
	v_lshlrev_b32_e32 v54, 1, v11
	v_lshlrev_b32_e32 v11, 3, v11
	global_load_dwordx2 v[41:42], v11, s[12:13] offset:40
	s_waitcnt vmcnt(0)
	v_mul_f16_sdwa v11, v34, v41 dst_sel:DWORD dst_unused:UNUSED_PAD src0_sel:DWORD src1_sel:WORD_1
	v_mul_f16_sdwa v35, v52, v41 dst_sel:DWORD dst_unused:UNUSED_PAD src0_sel:DWORD src1_sel:WORD_1
	v_fma_f16 v11, v52, v41, -v11
	v_fma_f16 v34, v34, v41, v35
	v_mul_f16_sdwa v41, v51, v42 dst_sel:DWORD dst_unused:UNUSED_PAD src0_sel:DWORD src1_sel:WORD_1
	v_mul_f16_sdwa v35, v37, v42 dst_sel:DWORD dst_unused:UNUSED_PAD src0_sel:DWORD src1_sel:WORD_1
	v_fma_f16 v37, v37, v42, v41
	v_mul_u32_u24_sdwa v41, v10, s6 dst_sel:DWORD dst_unused:UNUSED_PAD src0_sel:WORD_0 src1_sel:DWORD
	v_fma_f16 v35, v51, v42, -v35
	v_lshrrev_b32_e32 v51, 19, v41
	v_mul_lo_u16_e32 v41, 12, v51
	v_sub_u16_e32 v10, v10, v41
	v_lshlrev_b32_e32 v52, 1, v10
	v_lshlrev_b32_e32 v10, 3, v10
	global_load_dwordx2 v[41:42], v10, s[12:13] offset:40
	s_waitcnt vmcnt(0) lgkmcnt(2)
	v_mul_f16_sdwa v10, v39, v41 dst_sel:DWORD dst_unused:UNUSED_PAD src0_sel:DWORD src1_sel:WORD_1
	v_mul_f16_sdwa v44, v50, v41 dst_sel:DWORD dst_unused:UNUSED_PAD src0_sel:DWORD src1_sel:WORD_1
	v_fma_f16 v10, v50, v41, -v10
	v_fma_f16 v39, v39, v41, v44
	s_waitcnt lgkmcnt(0)
	v_mul_f16_sdwa v41, v36, v42 dst_sel:DWORD dst_unused:UNUSED_PAD src0_sel:DWORD src1_sel:WORD_1
	v_mul_f16_sdwa v44, v49, v42 dst_sel:DWORD dst_unused:UNUSED_PAD src0_sel:DWORD src1_sel:WORD_1
	v_fma_f16 v41, v49, v42, -v41
	v_fma_f16 v42, v36, v42, v44
	v_mul_u32_u24_sdwa v36, v12, s6 dst_sel:DWORD dst_unused:UNUSED_PAD src0_sel:WORD_0 src1_sel:DWORD
	v_lshrrev_b32_e32 v49, 19, v36
	v_mul_lo_u16_e32 v36, 12, v49
	v_sub_u16_e32 v12, v12, v36
	v_lshlrev_b32_e32 v36, 3, v12
	global_load_dwordx2 v[44:45], v36, s[12:13] offset:40
	s_waitcnt vmcnt(0)
	s_barrier
	v_mul_f16_sdwa v36, v38, v44 dst_sel:DWORD dst_unused:UNUSED_PAD src0_sel:DWORD src1_sel:WORD_1
	v_fma_f16 v36, v18, v44, -v36
	v_mul_f16_sdwa v18, v18, v44 dst_sel:DWORD dst_unused:UNUSED_PAD src0_sel:DWORD src1_sel:WORD_1
	v_fma_f16 v18, v38, v44, v18
	v_mul_f16_sdwa v38, v43, v45 dst_sel:DWORD dst_unused:UNUSED_PAD src0_sel:DWORD src1_sel:WORD_1
	v_fma_f16 v38, v17, v45, -v38
	v_mul_f16_sdwa v17, v17, v45 dst_sel:DWORD dst_unused:UNUSED_PAD src0_sel:DWORD src1_sel:WORD_1
	v_add_f16_e32 v44, v26, v28
	v_fma_f16 v17, v43, v45, v17
	v_add_f16_e32 v43, v40, v26
	v_fma_f16 v40, v44, -0.5, v40
	v_sub_f16_e32 v44, v27, v29
	v_fma_f16 v45, v44, s8, v40
	v_fma_f16 v40, v44, s9, v40
	v_add_f16_e32 v44, v21, v30
	v_add_f16_e32 v50, v44, v32
	v_add_f16_e32 v44, v30, v32
	v_fma_f16 v21, v44, -0.5, v21
	v_sub_f16_e32 v44, v31, v33
	v_fma_f16 v56, v44, s8, v21
	v_fma_f16 v21, v44, s9, v21
	v_add_f16_e32 v44, v20, v11
	v_add_f16_e32 v57, v44, v35
	;; [unrolled: 7-line block ×3, first 2 shown]
	v_add_f16_e32 v44, v10, v41
	v_fma_f16 v19, v44, -0.5, v19
	v_sub_f16_e32 v44, v39, v42
	v_fma_f16 v60, v44, s8, v19
	v_fma_f16 v19, v44, s9, v19
	v_mul_u32_u24_e32 v44, 0x48, v46
	v_add_f16_e32 v43, v43, v28
	v_add3_u32 v44, 0, v44, v47
	ds_write_b16 v44, v43
	ds_write_b16 v44, v45 offset:24
	ds_write_b16 v44, v40 offset:48
	v_mul_u32_u24_e32 v40, 0x48, v48
	v_add3_u32 v45, 0, v40, v55
	ds_write_b16 v45, v50
	ds_write_b16 v45, v56 offset:24
	ds_write_b16 v45, v21 offset:48
	v_mul_u32_u24_e32 v21, 0x48, v53
	;; [unrolled: 5-line block ×3, first 2 shown]
	v_add3_u32 v47, 0, v20, v52
	v_mul_lo_u16_e32 v40, 36, v49
	v_lshlrev_b32_e32 v43, 1, v12
	ds_write_b16 v47, v59
	ds_write_b16 v47, v60 offset:24
	ds_write_b16 v47, v19 offset:48
	s_and_saveexec_b64 s[6:7], s[0:1]
	s_cbranch_execz .LBB0_27
; %bb.26:
	v_add_f16_e32 v12, v36, v38
	v_fma_f16 v12, v12, -0.5, v15
	v_sub_f16_e32 v19, v18, v17
	v_fma_f16 v20, v19, s9, v12
	v_fma_f16 v12, v19, s8, v12
	v_add_f16_e32 v15, v15, v36
	v_lshlrev_b32_e32 v19, 1, v40
	v_add_f16_e32 v15, v15, v38
	v_add3_u32 v19, 0, v43, v19
	ds_write_b16 v19, v15
	ds_write_b16 v19, v12 offset:24
	ds_write_b16 v19, v20 offset:48
.LBB0_27:
	s_or_b64 exec, exec, s[6:7]
	v_add_f16_e32 v12, v24, v27
	v_add_f16_e32 v48, v12, v29
	v_add_f16_e32 v12, v27, v29
	v_fma_f16 v12, v12, -0.5, v24
	v_sub_f16_e32 v15, v26, v28
	v_fma_f16 v28, v15, s9, v12
	v_fma_f16 v29, v15, s8, v12
	v_add_f16_e32 v12, v25, v31
	v_add_f16_e32 v49, v12, v33
	v_add_f16_e32 v12, v31, v33
	v_fma_f16 v12, v12, -0.5, v25
	v_sub_f16_e32 v15, v30, v32
	v_fma_f16 v30, v15, s9, v12
	v_fma_f16 v31, v15, s8, v12
	v_add_f16_e32 v12, v23, v34
	v_add_f16_e32 v32, v12, v37
	v_add_f16_e32 v12, v34, v37
	v_fma_f16 v12, v12, -0.5, v23
	v_sub_f16_e32 v11, v11, v35
	v_fma_f16 v33, v11, s9, v12
	v_fma_f16 v34, v11, s8, v12
	v_add_f16_e32 v11, v22, v39
	v_add_f16_e32 v35, v11, v42
	v_add_f16_e32 v11, v39, v42
	v_fma_f16 v11, v11, -0.5, v22
	v_sub_f16_e32 v10, v10, v41
	v_fma_f16 v37, v10, s9, v11
	v_fma_f16 v39, v10, s8, v11
	s_waitcnt lgkmcnt(0)
	s_barrier
	v_add_u32_e32 v10, v13, v14
	ds_read_u16 v25, v5
	ds_read_u16 v24, v10
	ds_read_u16 v22, v0 offset:3024
	ds_read_u16 v12, v0
	ds_read_u16 v20, v0 offset:756
	ds_read_u16 v19, v0 offset:1260
	;; [unrolled: 1-line block ×7, first 2 shown]
	ds_read_u16 v27, v9
	ds_read_u16 v11, v6
	ds_read_u16 v13, v0 offset:3276
	s_waitcnt lgkmcnt(0)
	s_barrier
	ds_write_b16 v44, v48
	ds_write_b16 v44, v28 offset:24
	ds_write_b16 v44, v29 offset:48
	ds_write_b16 v45, v49
	ds_write_b16 v45, v30 offset:24
	ds_write_b16 v45, v31 offset:48
	;; [unrolled: 3-line block ×4, first 2 shown]
	s_and_saveexec_b64 s[6:7], s[0:1]
	s_cbranch_execz .LBB0_29
; %bb.28:
	v_add_f16_e32 v28, v16, v18
	v_add_f16_e32 v28, v28, v17
	;; [unrolled: 1-line block ×3, first 2 shown]
	v_fma_f16 v16, v17, -0.5, v16
	v_sub_f16_e32 v17, v36, v38
	s_mov_b32 s0, 0xbaee
	v_fma_f16 v18, v17, s0, v16
	s_movk_i32 s0, 0x3aee
	v_fma_f16 v16, v17, s0, v16
	v_lshlrev_b32_e32 v17, 1, v40
	v_add3_u32 v17, 0, v43, v17
	ds_write_b16 v17, v28
	ds_write_b16 v17, v18 offset:24
	ds_write_b16 v17, v16 offset:48
.LBB0_29:
	s_or_b64 exec, exec, s[6:7]
	v_mov_b32_e32 v43, 57
	v_mul_lo_u16_sdwa v28, v7, v43 dst_sel:DWORD dst_unused:UNUSED_PAD src0_sel:BYTE_0 src1_sel:DWORD
	v_lshrrev_b16_e32 v44, 11, v28
	v_mul_lo_u16_e32 v28, 36, v44
	v_sub_u16_e32 v45, v7, v28
	v_mov_b32_e32 v46, 6
	v_mul_u32_u24_sdwa v28, v45, v46 dst_sel:DWORD dst_unused:UNUSED_PAD src0_sel:BYTE_0 src1_sel:DWORD
	v_lshlrev_b32_e32 v47, 2, v28
	s_waitcnt lgkmcnt(0)
	s_barrier
	ds_read_u16 v18, v0
	ds_read_u16 v16, v9
	;; [unrolled: 1-line block ×4, first 2 shown]
	ds_read_u16 v33, v0 offset:2016
	ds_read_u16 v34, v0 offset:2520
	;; [unrolled: 1-line block ×3, first 2 shown]
	ds_read_u16 v36, v6
	ds_read_u16 v37, v0 offset:756
	ds_read_u16 v38, v0 offset:1260
	;; [unrolled: 1-line block ×6, first 2 shown]
	global_load_dwordx4 v[28:31], v47, s[12:13] offset:136
	s_movk_i32 s16, 0x2b26
	s_movk_i32 s0, 0x3b00
	s_mov_b32 s14, 0xbcab
	s_movk_i32 s1, 0x39e0
	s_mov_b32 s7, 0xb9e0
	;; [unrolled: 2-line block ×3, first 2 shown]
	s_movk_i32 s6, 0x370e
	s_movk_i32 s9, 0x3a52
	s_waitcnt vmcnt(0) lgkmcnt(12)
	v_mul_f16_sdwa v48, v16, v28 dst_sel:DWORD dst_unused:UNUSED_PAD src0_sel:DWORD src1_sel:WORD_1
	v_fma_f16 v48, v27, v28, -v48
	v_mul_f16_sdwa v27, v27, v28 dst_sel:DWORD dst_unused:UNUSED_PAD src0_sel:DWORD src1_sel:WORD_1
	v_fma_f16 v27, v16, v28, v27
	s_waitcnt lgkmcnt(11)
	v_mul_f16_sdwa v16, v17, v29 dst_sel:DWORD dst_unused:UNUSED_PAD src0_sel:DWORD src1_sel:WORD_1
	v_fma_f16 v28, v25, v29, -v16
	v_mul_f16_sdwa v16, v25, v29 dst_sel:DWORD dst_unused:UNUSED_PAD src0_sel:DWORD src1_sel:WORD_1
	v_fma_f16 v29, v17, v29, v16
	s_waitcnt lgkmcnt(10)
	;; [unrolled: 5-line block ×3, first 2 shown]
	v_mul_f16_sdwa v16, v33, v31 dst_sel:DWORD dst_unused:UNUSED_PAD src0_sel:DWORD src1_sel:WORD_1
	v_fma_f16 v32, v26, v31, -v16
	v_mul_f16_sdwa v16, v26, v31 dst_sel:DWORD dst_unused:UNUSED_PAD src0_sel:DWORD src1_sel:WORD_1
	v_fma_f16 v26, v33, v31, v16
	global_load_dwordx2 v[16:17], v47, s[12:13] offset:152
	s_waitcnt vmcnt(0) lgkmcnt(8)
	v_mul_f16_sdwa v24, v34, v16 dst_sel:DWORD dst_unused:UNUSED_PAD src0_sel:DWORD src1_sel:WORD_1
	v_fma_f16 v31, v23, v16, -v24
	v_mul_f16_sdwa v23, v23, v16 dst_sel:DWORD dst_unused:UNUSED_PAD src0_sel:DWORD src1_sel:WORD_1
	v_fma_f16 v33, v34, v16, v23
	s_waitcnt lgkmcnt(7)
	v_mul_f16_sdwa v16, v35, v17 dst_sel:DWORD dst_unused:UNUSED_PAD src0_sel:DWORD src1_sel:WORD_1
	v_fma_f16 v34, v22, v17, -v16
	v_mul_f16_sdwa v16, v22, v17 dst_sel:DWORD dst_unused:UNUSED_PAD src0_sel:DWORD src1_sel:WORD_1
	v_fma_f16 v17, v35, v17, v16
	v_mul_lo_u16_sdwa v16, v8, v43 dst_sel:DWORD dst_unused:UNUSED_PAD src0_sel:BYTE_0 src1_sel:DWORD
	v_lshrrev_b16_e32 v35, 11, v16
	v_mul_lo_u16_e32 v16, 36, v35
	v_sub_u16_e32 v43, v8, v16
	v_mul_u32_u24_sdwa v16, v43, v46 dst_sel:DWORD dst_unused:UNUSED_PAD src0_sel:BYTE_0 src1_sel:DWORD
	v_lshlrev_b32_e32 v16, 2, v16
	global_load_dwordx4 v[22:25], v16, s[12:13] offset:136
	s_waitcnt vmcnt(0) lgkmcnt(5)
	v_mul_f16_sdwa v46, v37, v22 dst_sel:DWORD dst_unused:UNUSED_PAD src0_sel:DWORD src1_sel:WORD_1
	v_fma_f16 v46, v20, v22, -v46
	v_mul_f16_sdwa v20, v20, v22 dst_sel:DWORD dst_unused:UNUSED_PAD src0_sel:DWORD src1_sel:WORD_1
	v_fma_f16 v20, v37, v22, v20
	s_waitcnt lgkmcnt(4)
	v_mul_f16_sdwa v22, v38, v23 dst_sel:DWORD dst_unused:UNUSED_PAD src0_sel:DWORD src1_sel:WORD_1
	v_fma_f16 v22, v19, v23, -v22
	v_mul_f16_sdwa v19, v19, v23 dst_sel:DWORD dst_unused:UNUSED_PAD src0_sel:DWORD src1_sel:WORD_1
	v_fma_f16 v19, v38, v23, v19
	s_waitcnt lgkmcnt(3)
	;; [unrolled: 5-line block ×3, first 2 shown]
	v_mul_f16_sdwa v24, v40, v25 dst_sel:DWORD dst_unused:UNUSED_PAD src0_sel:DWORD src1_sel:WORD_1
	v_fma_f16 v24, v15, v25, -v24
	v_mul_f16_sdwa v15, v15, v25 dst_sel:DWORD dst_unused:UNUSED_PAD src0_sel:DWORD src1_sel:WORD_1
	v_fma_f16 v25, v40, v25, v15
	global_load_dwordx2 v[15:16], v16, s[12:13] offset:152
	v_add_f16_e32 v38, v27, v17
	v_sub_f16_e32 v17, v27, v17
	v_add_f16_e32 v27, v28, v31
	v_add_f16_e32 v39, v29, v33
	v_sub_f16_e32 v28, v28, v31
	v_sub_f16_e32 v29, v29, v33
	v_add_f16_e32 v31, v49, v32
	v_add_f16_e32 v33, v30, v26
	v_sub_f16_e32 v32, v32, v49
	;; [unrolled: 4-line block ×3, first 2 shown]
	v_sub_f16_e32 v50, v26, v29
	s_waitcnt vmcnt(0) lgkmcnt(0)
	s_barrier
	v_mul_f16_sdwa v37, v41, v15 dst_sel:DWORD dst_unused:UNUSED_PAD src0_sel:DWORD src1_sel:WORD_1
	v_fma_f16 v37, v14, v15, -v37
	v_mul_f16_sdwa v14, v14, v15 dst_sel:DWORD dst_unused:UNUSED_PAD src0_sel:DWORD src1_sel:WORD_1
	v_fma_f16 v14, v41, v15, v14
	v_mul_f16_sdwa v15, v42, v16 dst_sel:DWORD dst_unused:UNUSED_PAD src0_sel:DWORD src1_sel:WORD_1
	v_fma_f16 v15, v13, v16, -v15
	v_mul_f16_sdwa v13, v13, v16 dst_sel:DWORD dst_unused:UNUSED_PAD src0_sel:DWORD src1_sel:WORD_1
	v_fma_f16 v13, v42, v16, v13
	v_add_f16_e32 v16, v48, v34
	v_sub_f16_e32 v34, v48, v34
	v_add_f16_e32 v30, v27, v16
	v_sub_f16_e32 v41, v27, v16
	v_sub_f16_e32 v42, v39, v38
	;; [unrolled: 1-line block ×6, first 2 shown]
	v_add_f16_e32 v48, v26, v29
	v_sub_f16_e32 v28, v28, v34
	v_sub_f16_e32 v29, v29, v17
	v_add_f16_e32 v30, v31, v30
	v_add_f16_e32 v31, v33, v40
	v_sub_f16_e32 v32, v34, v32
	v_sub_f16_e32 v26, v17, v26
	v_add_f16_e32 v33, v47, v34
	v_add_f16_e32 v17, v48, v17
	;; [unrolled: 1-line block ×4, first 2 shown]
	v_mul_f16_e32 v16, 0x3a52, v16
	v_mul_f16_e32 v18, 0x3a52, v38
	;; [unrolled: 1-line block ×8, first 2 shown]
	v_fma_f16 v30, v30, s14, v12
	v_fma_f16 v31, v31, s14, v34
	;; [unrolled: 1-line block ×4, first 2 shown]
	v_fma_f16 v38, v41, s1, -v38
	v_fma_f16 v40, v42, s1, -v40
	v_fma_f16 v16, v41, s7, -v16
	v_fma_f16 v18, v42, s7, -v18
	v_fma_f16 v41, v32, s15, v47
	v_fma_f16 v42, v26, s15, v48
	v_fma_f16 v29, v29, s0, -v48
	v_fma_f16 v32, v32, s8, -v49
	;; [unrolled: 1-line block ×4, first 2 shown]
	v_add_f16_e32 v27, v27, v30
	v_add_f16_e32 v39, v39, v31
	;; [unrolled: 1-line block ×6, first 2 shown]
	v_fma_f16 v30, v33, s6, v41
	v_fma_f16 v31, v17, s6, v42
	;; [unrolled: 1-line block ×6, first 2 shown]
	v_add_f16_e32 v26, v31, v27
	v_sub_f16_e32 v33, v39, v30
	v_add_f16_e32 v41, v17, v16
	v_sub_f16_e32 v42, v18, v32
	v_sub_f16_e32 v16, v16, v17
	v_add_f16_e32 v32, v32, v18
	v_sub_f16_e32 v17, v27, v31
	v_add_f16_e32 v27, v30, v39
	v_add_f16_e32 v18, v46, v15
	;; [unrolled: 1-line block ×3, first 2 shown]
	v_sub_f16_e32 v13, v20, v13
	v_add_f16_e32 v20, v22, v37
	v_add_f16_e32 v31, v19, v14
	v_sub_f16_e32 v15, v46, v15
	v_sub_f16_e32 v22, v22, v37
	;; [unrolled: 1-line block ×3, first 2 shown]
	v_add_f16_e32 v19, v23, v24
	v_add_f16_e32 v37, v21, v25
	v_sub_f16_e32 v23, v24, v23
	v_sub_f16_e32 v21, v25, v21
	v_add_f16_e32 v24, v20, v18
	v_add_f16_e32 v25, v31, v30
	v_sub_f16_e32 v47, v38, v29
	v_add_f16_e32 v48, v28, v40
	v_add_f16_e32 v29, v29, v38
	v_sub_f16_e32 v28, v40, v28
	v_sub_f16_e32 v38, v20, v18
	;; [unrolled: 1-line block ×7, first 2 shown]
	v_add_f16_e32 v40, v23, v22
	v_add_f16_e32 v46, v21, v14
	v_sub_f16_e32 v49, v23, v22
	v_sub_f16_e32 v50, v21, v14
	;; [unrolled: 1-line block ×3, first 2 shown]
	v_add_f16_e32 v19, v19, v24
	v_add_f16_e32 v24, v37, v25
	v_sub_f16_e32 v23, v15, v23
	v_sub_f16_e32 v21, v13, v21
	;; [unrolled: 1-line block ×3, first 2 shown]
	v_add_f16_e32 v15, v40, v15
	v_add_f16_e32 v13, v46, v13
	;; [unrolled: 1-line block ×4, first 2 shown]
	v_mul_f16_e32 v18, 0x3a52, v18
	v_mul_f16_e32 v30, 0x3a52, v30
	;; [unrolled: 1-line block ×8, first 2 shown]
	v_fma_f16 v19, v19, s14, v11
	v_fma_f16 v24, v24, s14, v25
	v_fma_f16 v20, v20, s16, v18
	v_fma_f16 v31, v31, s16, v30
	v_fma_f16 v36, v38, s1, -v36
	v_fma_f16 v37, v39, s1, -v37
	;; [unrolled: 1-line block ×4, first 2 shown]
	v_fma_f16 v38, v23, s15, v40
	v_fma_f16 v22, v22, s0, -v40
	v_fma_f16 v14, v14, s0, -v46
	;; [unrolled: 1-line block ×3, first 2 shown]
	v_fma_f16 v39, v21, s15, v46
	v_fma_f16 v21, v21, s8, -v50
	v_add_f16_e32 v20, v20, v19
	v_add_f16_e32 v31, v31, v24
	v_add_f16_e32 v36, v36, v19
	v_add_f16_e32 v37, v37, v24
	v_add_f16_e32 v18, v18, v19
	v_add_f16_e32 v19, v30, v24
	v_fma_f16 v24, v15, s6, v38
	v_fma_f16 v22, v15, s6, v22
	;; [unrolled: 1-line block ×6, first 2 shown]
	v_sub_f16_e32 v39, v19, v15
	v_sub_f16_e32 v40, v36, v14
	v_add_f16_e32 v46, v22, v37
	v_add_f16_e32 v14, v14, v36
	v_sub_f16_e32 v36, v37, v22
	v_add_f16_e32 v37, v15, v19
	v_mov_b32_e32 v19, 1
	v_add_f16_e32 v21, v30, v20
	v_add_f16_e32 v23, v13, v18
	v_sub_f16_e32 v13, v18, v13
	v_sub_f16_e32 v15, v20, v30
	v_mul_u32_u24_e32 v18, 0x1f8, v44
	v_lshlrev_b32_sdwa v20, v19, v45 dst_sel:DWORD dst_unused:UNUSED_PAD src0_sel:DWORD src1_sel:BYTE_0
	v_sub_f16_e32 v38, v31, v24
	v_add_f16_e32 v30, v24, v31
	v_add3_u32 v31, 0, v18, v20
	ds_write_b16 v31, v12
	ds_write_b16 v31, v26 offset:72
	ds_write_b16 v31, v41 offset:144
	;; [unrolled: 1-line block ×6, first 2 shown]
	v_mul_u32_u24_e32 v12, 0x1f8, v35
	v_lshlrev_b32_sdwa v16, v19, v43 dst_sel:DWORD dst_unused:UNUSED_PAD src0_sel:DWORD src1_sel:BYTE_0
	v_add3_u32 v26, 0, v12, v16
	ds_write_b16 v26, v11
	ds_write_b16 v26, v21 offset:72
	ds_write_b16 v26, v23 offset:144
	;; [unrolled: 1-line block ×6, first 2 shown]
	s_waitcnt lgkmcnt(0)
	s_barrier
	ds_read_u16 v11, v0
	ds_read_u16 v14, v9
	;; [unrolled: 1-line block ×4, first 2 shown]
	ds_read_u16 v15, v0 offset:2016
	ds_read_u16 v13, v0 offset:2520
	;; [unrolled: 1-line block ×3, first 2 shown]
	ds_read_u16 v18, v6
	ds_read_u16 v21, v0 offset:756
	ds_read_u16 v19, v0 offset:1260
	;; [unrolled: 1-line block ×6, first 2 shown]
	s_waitcnt lgkmcnt(0)
	s_barrier
	ds_write_b16 v31, v34
	ds_write_b16 v31, v33 offset:72
	ds_write_b16 v31, v42 offset:144
	;; [unrolled: 1-line block ×6, first 2 shown]
	ds_write_b16 v26, v25
	ds_write_b16 v26, v38 offset:72
	ds_write_b16 v26, v39 offset:144
	;; [unrolled: 1-line block ×6, first 2 shown]
	s_waitcnt lgkmcnt(0)
	s_barrier
	s_and_saveexec_b64 s[16:17], vcc
	s_cbranch_execz .LBB0_31
; %bb.30:
	v_mul_i32_i24_e32 v25, 6, v8
	v_mov_b32_e32 v26, 0
	v_lshlrev_b64 v[25:26], 2, v[25:26]
	v_mov_b32_e32 v8, s13
	v_add_co_u32_e32 v29, vcc, s12, v25
	v_addc_co_u32_e32 v30, vcc, v8, v26, vcc
	global_load_dwordx4 v[25:28], v[29:30], off offset:1000
	global_load_dwordx2 v[33:34], v[29:30], off offset:1016
	v_mul_u32_u24_e32 v8, 6, v7
	v_lshlrev_b32_e32 v47, 2, v8
	ds_read_u16 v37, v0 offset:2772
	ds_read_u16 v38, v0 offset:2520
	;; [unrolled: 1-line block ×6, first 2 shown]
	ds_read_u16 v6, v6
	ds_read_u16 v43, v9
	ds_read_u16 v10, v10
	ds_read_u16 v44, v0 offset:3276
	ds_read_u16 v45, v0 offset:3024
	;; [unrolled: 1-line block ×3, first 2 shown]
	ds_read_u16 v0, v0
	global_load_dwordx4 v[29:32], v47, s[12:13] offset:1000
	global_load_dwordx2 v[8:9], v47, s[12:13] offset:1016
	v_mul_lo_u32 v35, s5, v3
	v_mul_lo_u32 v36, s4, v4
	v_mad_u64_u32 v[3:4], s[4:5], s4, v3, 0
	ds_read_u16 v5, v5
	s_mov_b32 s4, 0x20820821
	v_add3_u32 v4, v4, v36, v35
	s_movk_i32 s5, 0xfc
	v_lshlrev_b64 v[3:4], 2, v[3:4]
	s_waitcnt vmcnt(3) lgkmcnt(11)
	v_mul_f16_sdwa v47, v39, v28 dst_sel:DWORD dst_unused:UNUSED_PAD src0_sel:DWORD src1_sel:WORD_1
	s_waitcnt lgkmcnt(9)
	v_mul_f16_sdwa v48, v41, v27 dst_sel:DWORD dst_unused:UNUSED_PAD src0_sel:DWORD src1_sel:WORD_1
	s_waitcnt lgkmcnt(8)
	v_mul_f16_sdwa v49, v42, v26 dst_sel:DWORD dst_unused:UNUSED_PAD src0_sel:DWORD src1_sel:WORD_1
	s_waitcnt vmcnt(2)
	v_mul_f16_sdwa v50, v37, v33 dst_sel:DWORD dst_unused:UNUSED_PAD src0_sel:DWORD src1_sel:WORD_1
	s_waitcnt lgkmcnt(2)
	v_mul_f16_sdwa v35, v46, v25 dst_sel:DWORD dst_unused:UNUSED_PAD src0_sel:DWORD src1_sel:WORD_1
	v_mul_f16_sdwa v36, v44, v34 dst_sel:DWORD dst_unused:UNUSED_PAD src0_sel:DWORD src1_sel:WORD_1
	;; [unrolled: 1-line block ×8, first 2 shown]
	v_fma_f16 v22, v22, v28, -v47
	v_fma_f16 v20, v20, v27, -v48
	;; [unrolled: 1-line block ×6, first 2 shown]
	v_fma_f16 v34, v34, v44, v51
	v_fma_f16 v25, v25, v46, v52
	;; [unrolled: 1-line block ×6, first 2 shown]
	v_sub_f16_e32 v36, v22, v20
	v_sub_f16_e32 v37, v19, v23
	;; [unrolled: 1-line block ×3, first 2 shown]
	v_add_f16_e32 v39, v25, v34
	v_add_f16_e32 v41, v28, v27
	;; [unrolled: 1-line block ×6, first 2 shown]
	v_sub_f16_e32 v25, v25, v34
	v_sub_f16_e32 v27, v28, v27
	;; [unrolled: 1-line block ×3, first 2 shown]
	v_add_f16_e32 v20, v22, v20
	v_sub_f16_e32 v22, v35, v36
	v_sub_f16_e32 v23, v36, v37
	v_add_f16_e32 v46, v39, v42
	v_add_f16_e32 v49, v21, v19
	;; [unrolled: 1-line block ×3, first 2 shown]
	v_sub_f16_e32 v28, v25, v27
	v_sub_f16_e32 v33, v27, v26
	v_add_f16_e32 v27, v27, v26
	v_sub_f16_e32 v35, v37, v35
	v_sub_f16_e32 v36, v39, v41
	;; [unrolled: 1-line block ×5, first 2 shown]
	v_mul_f16_e32 v23, 0xb846, v23
	v_add_f16_e32 v41, v41, v46
	v_add_f16_e32 v20, v20, v49
	;; [unrolled: 1-line block ×3, first 2 shown]
	v_mul_f16_e32 v37, 0x3b00, v35
	v_sub_f16_e32 v25, v26, v25
	v_mul_f16_e32 v50, 0x3a52, v36
	v_mul_f16_e32 v46, 0x3a52, v47
	;; [unrolled: 1-line block ×3, first 2 shown]
	v_fma_f16 v49, v22, s15, v23
	v_add_f16_e32 v51, v6, v41
	v_add_f16_e32 v18, v18, v20
	v_mul_f16_e32 v33, 0xb846, v33
	v_fma_f16 v22, v22, s8, -v37
	v_sub_f16_e32 v37, v42, v39
	v_sub_f16_e32 v19, v19, v21
	v_mul_f16_e32 v26, 0x3b00, v25
	v_mul_f16_e32 v44, 0x2b26, v44
	v_fma_f16 v6, v47, s9, v48
	v_fma_f16 v41, v41, s14, v51
	v_fma_f16 v20, v20, s14, v18
	v_fma_f16 v34, v28, s15, v33
	v_fma_f16 v39, v37, s7, -v50
	v_fma_f16 v21, v19, s7, -v46
	;; [unrolled: 1-line block ×3, first 2 shown]
	v_fma_f16 v36, v36, s9, v44
	v_add_f16_e32 v6, v6, v20
	v_fma_f16 v34, v27, s6, v34
	v_fma_f16 v22, v24, s6, v22
	v_add_f16_e32 v39, v39, v41
	v_add_f16_e32 v21, v21, v20
	v_fma_f16 v26, v27, s6, v26
	v_fma_f16 v37, v37, s1, -v44
	v_fma_f16 v25, v25, s0, -v33
	v_add_f16_e32 v36, v36, v41
	v_sub_f16_e32 v52, v6, v34
	v_add_f16_e32 v42, v22, v39
	v_sub_f16_e32 v28, v21, v26
	v_add_f16_e32 v37, v37, v41
	v_fma_f16 v23, v35, s0, -v23
	v_fma_f16 v25, v27, s6, v25
	v_sub_f16_e32 v22, v39, v22
	v_add_f16_e32 v21, v26, v21
	v_add_f16_e32 v26, v34, v6
	s_waitcnt vmcnt(1)
	v_mul_f16_sdwa v6, v43, v29 dst_sel:DWORD dst_unused:UNUSED_PAD src0_sel:DWORD src1_sel:WORD_1
	s_waitcnt vmcnt(0)
	v_mul_f16_sdwa v27, v45, v9 dst_sel:DWORD dst_unused:UNUSED_PAD src0_sel:DWORD src1_sel:WORD_1
	v_mul_f16_sdwa v34, v40, v32 dst_sel:DWORD dst_unused:UNUSED_PAD src0_sel:DWORD src1_sel:WORD_1
	;; [unrolled: 1-line block ×3, first 2 shown]
	s_waitcnt lgkmcnt(0)
	v_mul_f16_sdwa v39, v5, v30 dst_sel:DWORD dst_unused:UNUSED_PAD src0_sel:DWORD src1_sel:WORD_1
	v_mul_f16_sdwa v41, v38, v8 dst_sel:DWORD dst_unused:UNUSED_PAD src0_sel:DWORD src1_sel:WORD_1
	v_fma_f16 v6, v14, v29, -v6
	v_fma_f16 v27, v17, v9, -v27
	;; [unrolled: 1-line block ×6, first 2 shown]
	v_mul_f16_sdwa v17, v17, v9 dst_sel:DWORD dst_unused:UNUSED_PAD src0_sel:DWORD src1_sel:WORD_1
	v_mul_f16_sdwa v14, v14, v29 dst_sel:DWORD dst_unused:UNUSED_PAD src0_sel:DWORD src1_sel:WORD_1
	;; [unrolled: 1-line block ×6, first 2 shown]
	v_fma_f16 v9, v9, v45, v17
	v_fma_f16 v14, v29, v43, v14
	;; [unrolled: 1-line block ×6, first 2 shown]
	v_add_f16_e32 v17, v14, v9
	v_add_f16_e32 v16, v15, v10
	;; [unrolled: 1-line block ×3, first 2 shown]
	v_sub_f16_e32 v9, v14, v9
	v_sub_f16_e32 v10, v15, v10
	;; [unrolled: 1-line block ×5, first 2 shown]
	v_add_f16_e32 v10, v10, v5
	v_sub_f16_e32 v5, v5, v9
	v_sub_f16_e32 v29, v17, v16
	;; [unrolled: 1-line block ×3, first 2 shown]
	v_add_f16_e32 v10, v9, v10
	v_mul_f16_e32 v9, 0x3b00, v5
	v_mul_f16_e32 v31, 0x3a52, v29
	;; [unrolled: 1-line block ×3, first 2 shown]
	v_add_f16_e32 v30, v17, v12
	v_mul_f16_e32 v8, 0xb846, v8
	v_sub_f16_e32 v12, v12, v17
	v_fma_f16 v9, v14, s8, -v9
	v_fma_f16 v15, v14, s15, v8
	v_fma_f16 v17, v12, s7, -v31
	v_fma_f16 v14, v10, s6, v9
	v_fma_f16 v9, v12, s1, -v13
	v_lshrrev_b32_e32 v12, 2, v7
	v_mul_hi_u32 v12, v12, s4
	v_fma_f16 v19, v19, s1, -v48
	v_fma_f16 v47, v24, s6, v49
	v_add_f16_e32 v19, v19, v20
	v_fma_f16 v5, v5, s0, -v8
	v_add_f16_e32 v49, v47, v36
	v_add_f16_e32 v20, v25, v19
	v_sub_f16_e32 v19, v19, v25
	v_sub_f16_e32 v25, v36, v47
	v_sub_f16_e32 v33, v6, v27
	v_sub_f16_e32 v36, v34, v35
	v_add_f16_e32 v6, v6, v27
	v_add_f16_e32 v27, v34, v35
	;; [unrolled: 1-line block ×3, first 2 shown]
	v_fma_f16 v8, v10, s6, v5
	v_lshrrev_b32_e32 v5, 3, v12
	v_sub_f16_e32 v44, v39, v41
	v_add_f16_e32 v39, v6, v35
	v_mul_lo_u32 v5, v5, s5
	v_sub_f16_e32 v32, v6, v27
	v_sub_f16_e32 v38, v27, v35
	v_add_f16_e32 v27, v27, v39
	v_fma_f16 v23, v24, s6, v23
	v_add_f16_e32 v16, v16, v30
	v_mul_f16_e32 v34, 0x3a52, v32
	v_mul_f16_e32 v38, 0x2b26, v38
	v_add_f16_e32 v11, v11, v27
	v_sub_f16_e32 v6, v35, v6
	v_sub_f16_e32 v24, v37, v23
	v_add_f16_e32 v23, v23, v37
	v_sub_f16_e32 v37, v33, v36
	v_sub_f16_e32 v46, v36, v44
	v_add_f16_e32 v36, v36, v44
	v_add_f16_e32 v30, v0, v16
	v_fma_f16 v32, v32, s9, v38
	v_fma_f16 v27, v27, s14, v11
	v_fma_f16 v34, v6, s7, -v34
	v_fma_f16 v6, v6, s1, -v38
	v_mul_f16_e32 v46, 0xb846, v46
	v_add_f16_e32 v36, v33, v36
	v_fma_f16 v29, v29, s9, v13
	v_fma_f16 v0, v16, s14, v30
	v_add_f16_e32 v32, v32, v27
	v_fma_f16 v15, v10, s6, v15
	v_sub_f16_e32 v33, v44, v33
	v_add_f16_e32 v34, v34, v27
	v_add_f16_e32 v10, v6, v27
	v_sub_u32_e32 v27, v7, v5
	v_add_f16_e32 v16, v29, v0
	v_add_f16_e32 v17, v17, v0
	;; [unrolled: 1-line block ×3, first 2 shown]
	v_fma_f16 v9, v33, s0, -v46
	v_mad_u64_u32 v[5:6], s[0:1], s2, v27, 0
	v_fma_f16 v9, v36, s6, v9
	v_mul_f16_e32 v40, 0x3b00, v33
	v_sub_f16_e32 v13, v0, v9
	v_add_f16_e32 v33, v9, v0
	v_mov_b32_e32 v0, v6
	v_add_f16_e32 v12, v8, v10
	v_sub_f16_e32 v10, v10, v8
	v_mad_u64_u32 v[8:9], s[0:1], s3, v27, v[0:1]
	v_fma_f16 v47, v37, s15, v46
	v_fma_f16 v47, v36, s6, v47
	v_add_f16_e32 v29, v47, v16
	v_sub_f16_e32 v35, v34, v14
	v_add_f16_e32 v9, v14, v34
	v_sub_f16_e32 v14, v16, v47
	v_mov_b32_e32 v6, v8
	v_mov_b32_e32 v0, s11
	v_add_co_u32_e32 v8, vcc, s10, v3
	v_add_u32_e32 v16, 0xfc, v27
	v_addc_co_u32_e32 v4, vcc, v0, v4, vcc
	v_lshlrev_b64 v[0:1], 2, v[1:2]
	v_mad_u64_u32 v[2:3], s[0:1], s2, v16, 0
	v_add_co_u32_e32 v8, vcc, v8, v0
	v_sub_f16_e32 v39, v32, v15
	v_add_f16_e32 v15, v15, v32
	v_addc_co_u32_e32 v32, vcc, v4, v1, vcc
	v_lshlrev_b64 v[0:1], 2, v[5:6]
	v_mad_u64_u32 v[3:4], s[0:1], s3, v16, v[3:4]
	v_add_co_u32_e32 v0, vcc, v8, v0
	v_addc_co_u32_e32 v1, vcc, v32, v1, vcc
	v_pack_b32_f16 v4, v11, v30
	global_store_dword v[0:1], v4, off
	v_add_u32_e32 v4, 0x1f8, v27
	v_lshlrev_b64 v[0:1], 2, v[2:3]
	v_mad_u64_u32 v[2:3], s[0:1], s2, v4, 0
	v_add_u32_e32 v11, 0x2f4, v27
	v_add_co_u32_e32 v0, vcc, v8, v0
	v_mad_u64_u32 v[3:4], s[0:1], s3, v4, v[3:4]
	v_mad_u64_u32 v[4:5], s[0:1], s2, v11, 0
	v_addc_co_u32_e32 v1, vcc, v32, v1, vcc
	v_pack_b32_f16 v6, v15, v14
	global_store_dword v[0:1], v6, off
	v_lshlrev_b64 v[0:1], 2, v[2:3]
	v_mov_b32_e32 v2, v5
	v_mad_u64_u32 v[2:3], s[0:1], s3, v11, v[2:3]
	v_fma_f16 v37, v37, s8, -v40
	v_fma_f16 v37, v36, s6, v37
	v_add_f16_e32 v31, v37, v17
	v_sub_f16_e32 v17, v17, v37
	v_add_co_u32_e32 v0, vcc, v8, v0
	v_addc_co_u32_e32 v1, vcc, v32, v1, vcc
	v_pack_b32_f16 v3, v9, v17
	v_mov_b32_e32 v5, v2
	global_store_dword v[0:1], v3, off
	v_lshlrev_b64 v[0:1], 2, v[4:5]
	v_add_u32_e32 v4, 0x3f0, v27
	v_mad_u64_u32 v[2:3], s[0:1], s2, v4, 0
	v_add_u32_e32 v9, 0x4ec, v27
	v_add_co_u32_e32 v0, vcc, v8, v0
	v_mad_u64_u32 v[3:4], s[0:1], s3, v4, v[3:4]
	v_mad_u64_u32 v[4:5], s[0:1], s2, v9, 0
	v_addc_co_u32_e32 v1, vcc, v32, v1, vcc
	v_pack_b32_f16 v6, v10, v33
	global_store_dword v[0:1], v6, off
	v_lshlrev_b64 v[0:1], 2, v[2:3]
	v_mov_b32_e32 v2, v5
	v_mad_u64_u32 v[2:3], s[0:1], s3, v9, v[2:3]
	v_add_co_u32_e32 v0, vcc, v8, v0
	v_addc_co_u32_e32 v1, vcc, v32, v1, vcc
	v_pack_b32_f16 v3, v12, v13
	v_mov_b32_e32 v5, v2
	global_store_dword v[0:1], v3, off
	v_lshlrev_b64 v[0:1], 2, v[4:5]
	v_add_u32_e32 v4, 0x7e, v7
	v_lshrrev_b32_e32 v2, 2, v4
	v_mul_hi_u32 v5, v2, s4
	v_add_u32_e32 v6, 0x5e8, v27
	v_mad_u64_u32 v[2:3], s[0:1], s2, v6, 0
	v_lshrrev_b32_e32 v5, 3, v5
	v_mul_lo_u32 v7, v5, s5
	s_movk_i32 s0, 0x6e4
	v_add_co_u32_e32 v0, vcc, v8, v0
	v_sub_u32_e32 v4, v4, v7
	v_mad_u64_u32 v[4:5], s[0:1], v5, s0, v[4:5]
	v_addc_co_u32_e32 v1, vcc, v32, v1, vcc
	v_mad_u64_u32 v[5:6], s[0:1], s3, v6, v[3:4]
	v_mad_u64_u32 v[6:7], s[0:1], s2, v4, 0
	v_pack_b32_f16 v9, v35, v31
	v_mov_b32_e32 v3, v5
	global_store_dword v[0:1], v9, off
	v_lshlrev_b64 v[0:1], 2, v[2:3]
	v_mov_b32_e32 v2, v7
	v_mad_u64_u32 v[2:3], s[0:1], s3, v4, v[2:3]
	v_add_co_u32_e32 v0, vcc, v8, v0
	v_addc_co_u32_e32 v1, vcc, v32, v1, vcc
	v_pack_b32_f16 v3, v39, v29
	v_add_u32_e32 v5, 0xfc, v4
	global_store_dword v[0:1], v3, off
	v_mov_b32_e32 v7, v2
	v_mad_u64_u32 v[2:3], s[0:1], s2, v5, 0
	v_lshlrev_b64 v[0:1], 2, v[6:7]
	v_add_u32_e32 v10, 0x1f8, v4
	v_mad_u64_u32 v[5:6], s[0:1], s3, v5, v[3:4]
	v_mad_u64_u32 v[6:7], s[0:1], s2, v10, 0
	v_add_co_u32_e32 v0, vcc, v8, v0
	v_addc_co_u32_e32 v1, vcc, v32, v1, vcc
	v_pack_b32_f16 v9, v18, v51
	v_mov_b32_e32 v3, v5
	global_store_dword v[0:1], v9, off
	v_lshlrev_b64 v[0:1], 2, v[2:3]
	v_mov_b32_e32 v2, v7
	v_mad_u64_u32 v[2:3], s[0:1], s3, v10, v[2:3]
	v_add_co_u32_e32 v0, vcc, v8, v0
	v_addc_co_u32_e32 v1, vcc, v32, v1, vcc
	v_pack_b32_f16 v3, v26, v25
	v_add_u32_e32 v5, 0x2f4, v4
	global_store_dword v[0:1], v3, off
	v_mov_b32_e32 v7, v2
	v_mad_u64_u32 v[2:3], s[0:1], s2, v5, 0
	v_lshlrev_b64 v[0:1], 2, v[6:7]
	v_add_u32_e32 v10, 0x3f0, v4
	v_mad_u64_u32 v[5:6], s[0:1], s3, v5, v[3:4]
	v_mad_u64_u32 v[6:7], s[0:1], s2, v10, 0
	v_add_co_u32_e32 v0, vcc, v8, v0
	v_addc_co_u32_e32 v1, vcc, v32, v1, vcc
	v_pack_b32_f16 v9, v21, v22
	v_mov_b32_e32 v3, v5
	global_store_dword v[0:1], v9, off
	v_lshlrev_b64 v[0:1], 2, v[2:3]
	v_mov_b32_e32 v2, v7
	v_mad_u64_u32 v[2:3], s[0:1], s3, v10, v[2:3]
	v_add_co_u32_e32 v0, vcc, v8, v0
	v_addc_co_u32_e32 v1, vcc, v32, v1, vcc
	v_pack_b32_f16 v3, v19, v23
	v_add_u32_e32 v5, 0x4ec, v4
	global_store_dword v[0:1], v3, off
	v_mov_b32_e32 v7, v2
	v_mad_u64_u32 v[2:3], s[0:1], s2, v5, 0
	v_lshlrev_b64 v[0:1], 2, v[6:7]
	v_pack_b32_f16 v9, v20, v24
	v_mad_u64_u32 v[5:6], s[0:1], s3, v5, v[3:4]
	v_add_u32_e32 v4, 0x5e8, v4
	v_mad_u64_u32 v[6:7], s[0:1], s2, v4, 0
	v_add_co_u32_e32 v0, vcc, v8, v0
	v_addc_co_u32_e32 v1, vcc, v32, v1, vcc
	v_mov_b32_e32 v3, v5
	global_store_dword v[0:1], v9, off
	v_lshlrev_b64 v[0:1], 2, v[2:3]
	v_mov_b32_e32 v2, v7
	v_mad_u64_u32 v[2:3], s[0:1], s3, v4, v[2:3]
	v_add_co_u32_e32 v0, vcc, v8, v0
	v_addc_co_u32_e32 v1, vcc, v32, v1, vcc
	v_pack_b32_f16 v3, v28, v42
	v_mov_b32_e32 v7, v2
	global_store_dword v[0:1], v3, off
	v_lshlrev_b64 v[0:1], 2, v[6:7]
	v_pack_b32_f16 v2, v52, v49
	v_add_co_u32_e32 v0, vcc, v8, v0
	v_addc_co_u32_e32 v1, vcc, v32, v1, vcc
	global_store_dword v[0:1], v2, off
.LBB0_31:
	s_endpgm
	.section	.rodata,"a",@progbits
	.p2align	6, 0x0
	.amdhsa_kernel fft_rtc_fwd_len1764_factors_2_2_3_3_7_7_wgs_126_tpt_126_halfLds_half_op_CI_CI_sbrr_dirReg
		.amdhsa_group_segment_fixed_size 0
		.amdhsa_private_segment_fixed_size 0
		.amdhsa_kernarg_size 104
		.amdhsa_user_sgpr_count 6
		.amdhsa_user_sgpr_private_segment_buffer 1
		.amdhsa_user_sgpr_dispatch_ptr 0
		.amdhsa_user_sgpr_queue_ptr 0
		.amdhsa_user_sgpr_kernarg_segment_ptr 1
		.amdhsa_user_sgpr_dispatch_id 0
		.amdhsa_user_sgpr_flat_scratch_init 0
		.amdhsa_user_sgpr_private_segment_size 0
		.amdhsa_uses_dynamic_stack 0
		.amdhsa_system_sgpr_private_segment_wavefront_offset 0
		.amdhsa_system_sgpr_workgroup_id_x 1
		.amdhsa_system_sgpr_workgroup_id_y 0
		.amdhsa_system_sgpr_workgroup_id_z 0
		.amdhsa_system_sgpr_workgroup_info 0
		.amdhsa_system_vgpr_workitem_id 0
		.amdhsa_next_free_vgpr 63
		.amdhsa_next_free_sgpr 32
		.amdhsa_reserve_vcc 1
		.amdhsa_reserve_flat_scratch 0
		.amdhsa_float_round_mode_32 0
		.amdhsa_float_round_mode_16_64 0
		.amdhsa_float_denorm_mode_32 3
		.amdhsa_float_denorm_mode_16_64 3
		.amdhsa_dx10_clamp 1
		.amdhsa_ieee_mode 1
		.amdhsa_fp16_overflow 0
		.amdhsa_exception_fp_ieee_invalid_op 0
		.amdhsa_exception_fp_denorm_src 0
		.amdhsa_exception_fp_ieee_div_zero 0
		.amdhsa_exception_fp_ieee_overflow 0
		.amdhsa_exception_fp_ieee_underflow 0
		.amdhsa_exception_fp_ieee_inexact 0
		.amdhsa_exception_int_div_zero 0
	.end_amdhsa_kernel
	.text
.Lfunc_end0:
	.size	fft_rtc_fwd_len1764_factors_2_2_3_3_7_7_wgs_126_tpt_126_halfLds_half_op_CI_CI_sbrr_dirReg, .Lfunc_end0-fft_rtc_fwd_len1764_factors_2_2_3_3_7_7_wgs_126_tpt_126_halfLds_half_op_CI_CI_sbrr_dirReg
                                        ; -- End function
	.section	.AMDGPU.csdata,"",@progbits
; Kernel info:
; codeLenInByte = 11664
; NumSgprs: 36
; NumVgprs: 63
; ScratchSize: 0
; MemoryBound: 0
; FloatMode: 240
; IeeeMode: 1
; LDSByteSize: 0 bytes/workgroup (compile time only)
; SGPRBlocks: 4
; VGPRBlocks: 15
; NumSGPRsForWavesPerEU: 36
; NumVGPRsForWavesPerEU: 63
; Occupancy: 4
; WaveLimiterHint : 1
; COMPUTE_PGM_RSRC2:SCRATCH_EN: 0
; COMPUTE_PGM_RSRC2:USER_SGPR: 6
; COMPUTE_PGM_RSRC2:TRAP_HANDLER: 0
; COMPUTE_PGM_RSRC2:TGID_X_EN: 1
; COMPUTE_PGM_RSRC2:TGID_Y_EN: 0
; COMPUTE_PGM_RSRC2:TGID_Z_EN: 0
; COMPUTE_PGM_RSRC2:TIDIG_COMP_CNT: 0
	.type	__hip_cuid_f8ec52e1ec0b77f4,@object ; @__hip_cuid_f8ec52e1ec0b77f4
	.section	.bss,"aw",@nobits
	.globl	__hip_cuid_f8ec52e1ec0b77f4
__hip_cuid_f8ec52e1ec0b77f4:
	.byte	0                               ; 0x0
	.size	__hip_cuid_f8ec52e1ec0b77f4, 1

	.ident	"AMD clang version 19.0.0git (https://github.com/RadeonOpenCompute/llvm-project roc-6.4.0 25133 c7fe45cf4b819c5991fe208aaa96edf142730f1d)"
	.section	".note.GNU-stack","",@progbits
	.addrsig
	.addrsig_sym __hip_cuid_f8ec52e1ec0b77f4
	.amdgpu_metadata
---
amdhsa.kernels:
  - .args:
      - .actual_access:  read_only
        .address_space:  global
        .offset:         0
        .size:           8
        .value_kind:     global_buffer
      - .offset:         8
        .size:           8
        .value_kind:     by_value
      - .actual_access:  read_only
        .address_space:  global
        .offset:         16
        .size:           8
        .value_kind:     global_buffer
      - .actual_access:  read_only
        .address_space:  global
        .offset:         24
        .size:           8
        .value_kind:     global_buffer
      - .actual_access:  read_only
        .address_space:  global
        .offset:         32
        .size:           8
        .value_kind:     global_buffer
      - .offset:         40
        .size:           8
        .value_kind:     by_value
      - .actual_access:  read_only
        .address_space:  global
        .offset:         48
        .size:           8
        .value_kind:     global_buffer
      - .actual_access:  read_only
        .address_space:  global
        .offset:         56
        .size:           8
        .value_kind:     global_buffer
      - .offset:         64
        .size:           4
        .value_kind:     by_value
      - .actual_access:  read_only
        .address_space:  global
        .offset:         72
        .size:           8
        .value_kind:     global_buffer
      - .actual_access:  read_only
        .address_space:  global
        .offset:         80
        .size:           8
        .value_kind:     global_buffer
      - .actual_access:  read_only
        .address_space:  global
        .offset:         88
        .size:           8
        .value_kind:     global_buffer
      - .actual_access:  write_only
        .address_space:  global
        .offset:         96
        .size:           8
        .value_kind:     global_buffer
    .group_segment_fixed_size: 0
    .kernarg_segment_align: 8
    .kernarg_segment_size: 104
    .language:       OpenCL C
    .language_version:
      - 2
      - 0
    .max_flat_workgroup_size: 126
    .name:           fft_rtc_fwd_len1764_factors_2_2_3_3_7_7_wgs_126_tpt_126_halfLds_half_op_CI_CI_sbrr_dirReg
    .private_segment_fixed_size: 0
    .sgpr_count:     36
    .sgpr_spill_count: 0
    .symbol:         fft_rtc_fwd_len1764_factors_2_2_3_3_7_7_wgs_126_tpt_126_halfLds_half_op_CI_CI_sbrr_dirReg.kd
    .uniform_work_group_size: 1
    .uses_dynamic_stack: false
    .vgpr_count:     63
    .vgpr_spill_count: 0
    .wavefront_size: 64
amdhsa.target:   amdgcn-amd-amdhsa--gfx906
amdhsa.version:
  - 1
  - 2
...

	.end_amdgpu_metadata
